;; amdgpu-corpus repo=ROCm/rocFFT kind=compiled arch=gfx1030 opt=O3
	.text
	.amdgcn_target "amdgcn-amd-amdhsa--gfx1030"
	.amdhsa_code_object_version 6
	.protected	bluestein_single_fwd_len4704_dim1_sp_op_CI_CI ; -- Begin function bluestein_single_fwd_len4704_dim1_sp_op_CI_CI
	.globl	bluestein_single_fwd_len4704_dim1_sp_op_CI_CI
	.p2align	8
	.type	bluestein_single_fwd_len4704_dim1_sp_op_CI_CI,@function
bluestein_single_fwd_len4704_dim1_sp_op_CI_CI: ; @bluestein_single_fwd_len4704_dim1_sp_op_CI_CI
; %bb.0:
	s_load_dwordx4 s[8:11], s[4:5], 0x28
	v_mul_u32_u24_e32 v1, 0x125, v0
	v_mov_b32_e32 v121, 0
	s_mov_b32 s0, exec_lo
	v_lshrrev_b32_e32 v1, 16, v1
	v_add_nc_u32_e32 v120, s6, v1
	s_waitcnt lgkmcnt(0)
	v_cmpx_gt_u64_e64 s[8:9], v[120:121]
	s_cbranch_execz .LBB0_23
; %bb.1:
	s_clause 0x1
	s_load_dwordx4 s[0:3], s[4:5], 0x18
	s_load_dwordx2 s[6:7], s[4:5], 0x0
	v_mul_lo_u16 v1, 0xe0, v1
	v_sub_nc_u16 v41, v0, v1
	v_and_b32_e32 v162, 0xffff, v41
	v_lshlrev_b32_e32 v161, 3, v162
	s_waitcnt lgkmcnt(0)
	s_load_dwordx4 s[12:15], s[0:1], 0x0
	s_clause 0x1
	global_load_dwordx2 v[143:144], v161, s[6:7]
	global_load_dwordx2 v[116:117], v161, s[6:7] offset:1792
	v_add_co_u32 v159, s0, s6, v161
	v_add_co_ci_u32_e64 v160, null, s7, 0, s0
	v_add_co_u32 v0, vcc_lo, 0x1000, v159
	v_add_co_ci_u32_e32 v1, vcc_lo, 0, v160, vcc_lo
	v_add_co_u32 v112, vcc_lo, 0x2000, v159
	v_add_co_ci_u32_e32 v113, vcc_lo, 0, v160, vcc_lo
	;; [unrolled: 2-line block ×3, first 2 shown]
	s_waitcnt lgkmcnt(0)
	v_mad_u64_u32 v[2:3], null, s14, v120, 0
	v_add_co_u32 v4, vcc_lo, 0x4800, v159
	v_mad_u64_u32 v[6:7], null, s12, v162, 0
	v_add_co_ci_u32_e32 v5, vcc_lo, 0, v160, vcc_lo
	v_add_co_u32 v8, vcc_lo, 0x5800, v159
	v_mad_u64_u32 v[10:11], null, s15, v120, v[3:4]
	global_load_dwordx2 v[147:148], v[0:1], off offset:608
	v_mad_u64_u32 v[0:1], null, s13, v162, v[7:8]
	v_add_co_ci_u32_e32 v9, vcc_lo, 0, v160, vcc_lo
	v_add_co_u32 v108, vcc_lo, 0x6800, v159
	v_mov_b32_e32 v3, v10
	v_add_co_ci_u32_e32 v109, vcc_lo, 0, v160, vcc_lo
	v_mov_b32_e32 v7, v0
	v_add_co_u32 v11, vcc_lo, 0x8000, v159
	v_lshlrev_b64 v[0:1], 3, v[2:3]
	v_add_co_ci_u32_e32 v12, vcc_lo, 0, v160, vcc_lo
	v_lshlrev_b64 v[2:3], 3, v[6:7]
	s_mul_i32 s1, s13, 0x24c
	s_mul_hi_u32 s6, s12, 0x24c
	v_add_co_u32 v0, vcc_lo, s10, v0
	v_add_co_ci_u32_e32 v1, vcc_lo, s11, v1, vcc_lo
	s_mul_i32 s0, s12, 0x24c
	v_add_co_u32 v0, vcc_lo, v0, v2
	s_add_i32 s1, s6, s1
	v_add_co_ci_u32_e32 v1, vcc_lo, v1, v3, vcc_lo
	s_lshl_b64 s[14:15], s[0:1], 3
	s_clause 0x2
	global_load_dwordx2 v[145:146], v[112:113], off offset:1216
	global_load_dwordx2 v[141:142], v[110:111], off offset:1824
	;; [unrolled: 1-line block ×3, first 2 shown]
	v_add_co_u32 v2, vcc_lo, v0, s14
	v_add_co_ci_u32_e32 v3, vcc_lo, s15, v1, vcc_lo
	s_clause 0x2
	global_load_dwordx2 v[135:136], v[8:9], off offset:992
	global_load_dwordx2 v[133:134], v[108:109], off offset:1600
	;; [unrolled: 1-line block ×3, first 2 shown]
	v_add_co_u32 v4, vcc_lo, v2, s14
	v_add_co_ci_u32_e32 v5, vcc_lo, s15, v3, vcc_lo
	s_mul_hi_u32 s6, s12, 0xfffff0cc
	v_add_co_u32 v6, vcc_lo, v4, s14
	v_add_co_ci_u32_e32 v7, vcc_lo, s15, v5, vcc_lo
	s_mul_i32 s1, s13, 0xfffff0cc
	v_add_co_u32 v8, vcc_lo, v6, s14
	v_add_co_ci_u32_e32 v9, vcc_lo, s15, v7, vcc_lo
	s_sub_i32 s6, s6, s12
	v_add_co_u32 v13, vcc_lo, v8, s14
	v_add_co_ci_u32_e32 v14, vcc_lo, s15, v9, vcc_lo
	s_mul_i32 s0, s12, 0xfffff0cc
	v_add_co_u32 v15, vcc_lo, v13, s14
	v_add_co_ci_u32_e32 v16, vcc_lo, s15, v14, vcc_lo
	s_add_i32 s1, s6, s1
	v_add_co_u32 v17, vcc_lo, v15, s14
	v_add_co_ci_u32_e32 v18, vcc_lo, s15, v16, vcc_lo
	s_lshl_b64 s[0:1], s[0:1], 3
	s_clause 0x1
	global_load_dwordx2 v[19:20], v[0:1], off
	global_load_dwordx2 v[2:3], v[2:3], off
	v_add_co_u32 v0, vcc_lo, v17, s0
	v_add_co_ci_u32_e32 v1, vcc_lo, s1, v18, vcc_lo
	s_clause 0x2
	global_load_dwordx2 v[4:5], v[4:5], off
	global_load_dwordx2 v[6:7], v[6:7], off
	;; [unrolled: 1-line block ×7, first 2 shown]
	v_add_co_u32 v0, vcc_lo, v0, s14
	v_add_co_ci_u32_e32 v1, vcc_lo, s15, v1, vcc_lo
	v_add_co_u32 v23, vcc_lo, 0x1800, v159
	v_add_co_ci_u32_e32 v24, vcc_lo, 0, v160, vcc_lo
	;; [unrolled: 2-line block ×5, first 2 shown]
	global_load_dwordx2 v[31:32], v[0:1], off
	global_load_dwordx2 v[137:138], v[23:24], off offset:352
	global_load_dwordx2 v[23:24], v[25:26], off
	global_load_dwordx2 v[129:130], v[27:28], off offset:960
	global_load_dwordx2 v[25:26], v[29:30], off
	v_add_co_u32 v0, vcc_lo, 0x3800, v159
	v_add_co_ci_u32_e32 v1, vcc_lo, 0, v160, vcc_lo
	v_add_co_u32 v27, vcc_lo, v29, s14
	v_add_co_ci_u32_e32 v28, vcc_lo, s15, v30, vcc_lo
	;; [unrolled: 2-line block ×5, first 2 shown]
	global_load_dwordx2 v[125:126], v[0:1], off offset:1568
	global_load_dwordx2 v[27:28], v[27:28], off
	global_load_dwordx2 v[127:128], v[114:115], off offset:128
	global_load_dwordx2 v[35:36], v[29:30], off
	global_load_dwordx2 v[118:119], v[33:34], off offset:736
	v_add_co_u32 v29, vcc_lo, v29, s14
	v_add_co_ci_u32_e32 v30, vcc_lo, s15, v30, vcc_lo
	v_add_co_u32 v33, vcc_lo, 0x7000, v159
	v_add_co_ci_u32_e32 v34, vcc_lo, 0, v160, vcc_lo
	;; [unrolled: 2-line block ×3, first 2 shown]
	global_load_dwordx2 v[29:30], v[29:30], off
	s_clause 0x1
	global_load_dwordx2 v[121:122], v[33:34], off offset:1344
	global_load_dwordx2 v[123:124], v[11:12], off offset:1952
	global_load_dwordx2 v[10:11], v[0:1], off
	s_load_dwordx2 s[6:7], s[4:5], 0x38
	s_load_dwordx4 s[8:11], s[2:3], 0x0
	v_cmp_gt_u16_e32 vcc_lo, 0x8c, v41
	s_waitcnt vmcnt(22)
	v_mul_f32_e32 v12, v19, v144
	s_waitcnt vmcnt(21)
	v_mul_f32_e32 v37, v3, v148
	v_mul_f32_e32 v34, v2, v148
	s_waitcnt vmcnt(20)
	v_mul_f32_e32 v39, v5, v146
	v_mul_f32_e32 v40, v4, v146
	;; [unrolled: 1-line block ×3, first 2 shown]
	v_fmac_f32_e32 v37, v2, v147
	s_waitcnt vmcnt(19)
	v_mul_f32_e32 v2, v7, v142
	v_fma_f32 v38, v3, v147, -v34
	v_mul_f32_e32 v3, v6, v142
	v_fmac_f32_e32 v39, v4, v145
	v_fma_f32 v40, v5, v145, -v40
	s_waitcnt vmcnt(18)
	v_mul_f32_e32 v4, v9, v140
	v_mul_f32_e32 v5, v8, v140
	v_fma_f32 v34, v20, v143, -v12
	v_fmac_f32_e32 v2, v6, v141
	s_waitcnt vmcnt(17)
	v_mul_f32_e32 v6, v14, v136
	v_mul_f32_e32 v12, v13, v136
	v_fma_f32 v3, v7, v141, -v3
	v_fmac_f32_e32 v4, v8, v139
	v_fma_f32 v5, v9, v139, -v5
	v_fmac_f32_e32 v6, v13, v135
	v_fma_f32 v7, v14, v135, -v12
	ds_write_b64 v161, v[37:38] offset:4704
	ds_write_b64 v161, v[39:40] offset:9408
	s_waitcnt vmcnt(16)
	v_mul_f32_e32 v8, v16, v134
	ds_write_b64 v161, v[2:3] offset:14112
	ds_write_b64 v161, v[4:5] offset:18816
	v_mul_f32_e32 v3, v15, v134
	s_waitcnt vmcnt(15)
	v_mul_f32_e32 v2, v18, v132
	v_mul_f32_e32 v5, v17, v132
	ds_write_b64 v161, v[6:7] offset:23520
	s_waitcnt vmcnt(14)
	v_mul_f32_e32 v4, v22, v117
	v_mul_f32_e32 v6, v21, v117
	v_fmac_f32_e32 v8, v15, v133
	v_fma_f32 v9, v16, v133, -v3
	v_fmac_f32_e32 v2, v17, v131
	v_fma_f32 v3, v18, v131, -v5
	v_fmac_f32_e32 v33, v19, v143
	v_fmac_f32_e32 v4, v21, v116
	v_fma_f32 v5, v22, v116, -v6
	s_waitcnt vmcnt(12)
	v_mul_f32_e32 v6, v32, v138
	v_mul_f32_e32 v7, v31, v138
	ds_write_b64 v161, v[8:9] offset:28224
	ds_write_b64 v161, v[2:3] offset:32928
	ds_write2_b64 v161, v[33:34], v[4:5] offset1:224
	s_waitcnt vmcnt(10)
	v_mul_f32_e32 v2, v24, v130
	v_mul_f32_e32 v3, v23, v130
	s_waitcnt vmcnt(8)
	v_mul_f32_e32 v4, v26, v126
	v_mul_f32_e32 v5, v25, v126
	v_fmac_f32_e32 v6, v31, v137
	v_fma_f32 v7, v32, v137, -v7
	v_fmac_f32_e32 v2, v23, v129
	v_fma_f32 v3, v24, v129, -v3
	;; [unrolled: 2-line block ×3, first 2 shown]
	ds_write_b64 v161, v[6:7] offset:6496
	s_waitcnt vmcnt(6)
	v_mul_f32_e32 v6, v28, v128
	v_mul_f32_e32 v7, v27, v128
	ds_write_b64 v161, v[2:3] offset:11200
	s_waitcnt vmcnt(4)
	v_mul_f32_e32 v2, v36, v119
	v_mul_f32_e32 v3, v35, v119
	;; [unrolled: 4-line block ×3, first 2 shown]
	s_waitcnt vmcnt(0)
	v_mul_f32_e32 v8, v11, v124
	v_mul_f32_e32 v9, v10, v124
	v_fmac_f32_e32 v6, v27, v127
	v_fma_f32 v7, v28, v127, -v7
	v_fmac_f32_e32 v2, v35, v118
	v_fma_f32 v3, v36, v118, -v3
	;; [unrolled: 2-line block ×4, first 2 shown]
	ds_write_b64 v161, v[6:7] offset:20608
	ds_write_b64 v161, v[2:3] offset:25312
	;; [unrolled: 1-line block ×4, first 2 shown]
	s_and_saveexec_b32 s2, vcc_lo
	s_cbranch_execz .LBB0_3
; %bb.2:
	v_add_co_u32 v0, s0, v0, s0
	v_add_co_ci_u32_e64 v1, s0, s1, v1, s0
	v_add_co_u32 v2, s0, v0, s14
	v_add_co_ci_u32_e64 v3, s0, s15, v1, s0
	v_add_co_u32 v4, s0, v2, s14
	v_add_co_ci_u32_e64 v5, s0, s15, v3, s0
	v_add_co_u32 v6, s0, 0x800, v159
	v_add_co_ci_u32_e64 v7, s0, 0, v160, s0
	v_add_co_u32 v8, s0, v4, s14
	v_add_co_ci_u32_e64 v9, s0, s15, v5, s0
	v_add_co_u32 v12, s0, 0x4000, v159
	v_add_co_ci_u32_e64 v13, s0, 0, v160, s0
	global_load_dwordx2 v[0:1], v[0:1], off
	global_load_dwordx2 v[6:7], v[6:7], off offset:1536
	global_load_dwordx2 v[2:3], v[2:3], off
	global_load_dwordx2 v[4:5], v[4:5], off
	;; [unrolled: 1-line block ×3, first 2 shown]
	v_add_co_u32 v8, s0, v8, s14
	v_add_co_ci_u32_e64 v9, s0, s15, v9, s0
	global_load_dwordx2 v[12:13], v[12:13], off offset:1312
	v_add_co_u32 v14, s0, v8, s14
	v_add_co_ci_u32_e64 v15, s0, s15, v9, s0
	global_load_dwordx2 v[16:17], v[112:113], off offset:96
	global_load_dwordx2 v[8:9], v[8:9], off
	s_clause 0x1
	global_load_dwordx2 v[18:19], v[110:111], off offset:704
	global_load_dwordx2 v[20:21], v[114:115], off offset:1920
	global_load_dwordx2 v[22:23], v[14:15], off
	global_load_dwordx2 v[24:25], v[108:109], off offset:480
	v_add_co_u32 v14, s0, v14, s14
	v_add_co_ci_u32_e64 v15, s0, s15, v15, s0
	v_add_co_u32 v26, s0, 0x7800, v159
	v_add_co_ci_u32_e64 v27, s0, 0, v160, s0
	;; [unrolled: 2-line block ×4, first 2 shown]
	global_load_dwordx2 v[14:15], v[14:15], off
	s_clause 0x1
	global_load_dwordx2 v[26:27], v[26:27], off offset:1088
	global_load_dwordx2 v[28:29], v[28:29], off offset:1696
	global_load_dwordx2 v[30:31], v[30:31], off
	s_waitcnt vmcnt(14)
	v_mul_f32_e32 v32, v1, v7
	v_mul_f32_e32 v7, v0, v7
	v_fmac_f32_e32 v32, v0, v6
	v_fma_f32 v33, v1, v6, -v7
	s_waitcnt vmcnt(9)
	v_mul_f32_e32 v0, v3, v17
	v_mul_f32_e32 v17, v2, v17
	s_waitcnt vmcnt(7)
	v_mul_f32_e32 v6, v5, v19
	v_mul_f32_e32 v7, v4, v19
	v_fmac_f32_e32 v0, v2, v16
	v_fma_f32 v1, v3, v16, -v17
	v_fmac_f32_e32 v6, v4, v18
	v_fma_f32 v7, v5, v18, -v7
	s_waitcnt vmcnt(6)
	v_mul_f32_e32 v2, v9, v21
	v_mul_f32_e32 v3, v8, v21
	ds_write_b64 v161, v[32:33] offset:3584
	ds_write_b64 v161, v[0:1] offset:8288
	v_mul_f32_e32 v0, v11, v13
	v_mul_f32_e32 v1, v10, v13
	s_waitcnt vmcnt(4)
	v_mul_f32_e32 v4, v23, v25
	v_mul_f32_e32 v5, v22, v25
	ds_write_b64 v161, v[6:7] offset:12992
	v_fmac_f32_e32 v2, v8, v20
	v_fma_f32 v3, v9, v20, -v3
	v_fmac_f32_e32 v0, v10, v12
	s_waitcnt vmcnt(2)
	v_mul_f32_e32 v6, v15, v27
	v_mul_f32_e32 v7, v14, v27
	s_waitcnt vmcnt(0)
	v_mul_f32_e32 v8, v31, v29
	v_mul_f32_e32 v9, v30, v29
	v_fma_f32 v1, v11, v12, -v1
	v_fmac_f32_e32 v4, v22, v24
	v_fma_f32 v5, v23, v24, -v5
	v_fmac_f32_e32 v6, v14, v26
	;; [unrolled: 2-line block ×3, first 2 shown]
	v_fma_f32 v9, v31, v28, -v9
	ds_write_b64 v161, v[0:1] offset:17696
	ds_write_b64 v161, v[2:3] offset:22400
	;; [unrolled: 1-line block ×5, first 2 shown]
.LBB0_3:
	s_or_b32 exec_lo, exec_lo, s2
	v_add_nc_u32_e32 v12, 0x3700, v161
	v_add_nc_u32_e32 v0, 0x1200, v161
	;; [unrolled: 1-line block ×7, first 2 shown]
	s_waitcnt lgkmcnt(0)
	s_barrier
	buffer_gl0_inv
	ds_read2_b64 v[8:11], v161 offset1:224
	ds_read2_b64 v[0:3], v0 offset0:12 offset1:236
	ds_read2_b64 v[4:7], v4 offset0:24 offset1:248
	;; [unrolled: 1-line block ×7, first 2 shown]
                                        ; implicit-def: $vgpr38
                                        ; implicit-def: $vgpr42
                                        ; implicit-def: $vgpr40
                                        ; implicit-def: $vgpr44
                                        ; implicit-def: $vgpr32
                                        ; implicit-def: $vgpr36
                                        ; implicit-def: $vgpr34
                                        ; implicit-def: $vgpr46
	s_and_saveexec_b32 s0, vcc_lo
	s_cbranch_execz .LBB0_5
; %bb.4:
	ds_read_b64 v[34:35], v161 offset:8288
	ds_read_b64 v[36:37], v161 offset:12992
	;; [unrolled: 1-line block ×8, first 2 shown]
.LBB0_5:
	s_or_b32 exec_lo, exec_lo, s0
	s_waitcnt lgkmcnt(3)
	v_sub_f32_e32 v28, v8, v28
	v_sub_f32_e32 v29, v9, v29
	s_waitcnt lgkmcnt(1)
	v_sub_f32_e32 v25, v5, v25
	v_sub_f32_e32 v20, v0, v20
	;; [unrolled: 1-line block ×3, first 2 shown]
	s_waitcnt lgkmcnt(0)
	v_sub_f32_e32 v17, v13, v17
	v_sub_f32_e32 v24, v4, v24
	v_fma_f32 v9, v9, 2.0, -v29
	v_fma_f32 v5, v5, 2.0, -v25
	v_sub_f32_e32 v16, v12, v16
	v_fma_f32 v1, v1, 2.0, -v21
	v_fma_f32 v13, v13, 2.0, -v17
	v_sub_f32_e32 v25, v28, v25
	v_sub_f32_e32 v53, v20, v17
	v_fma_f32 v8, v8, 2.0, -v28
	v_fma_f32 v4, v4, 2.0, -v24
	;; [unrolled: 1-line block ×3, first 2 shown]
	v_sub_f32_e32 v5, v9, v5
	v_fma_f32 v12, v12, 2.0, -v16
	v_fma_f32 v17, v28, 2.0, -v25
	v_sub_f32_e32 v13, v1, v13
	v_add_f32_e32 v28, v21, v16
	v_fma_f32 v16, v20, 2.0, -v53
	v_sub_f32_e32 v4, v8, v4
	v_fma_f32 v9, v9, 2.0, -v5
	v_add_f32_e32 v24, v29, v24
	v_sub_f32_e32 v12, v0, v12
	v_fma_f32 v1, v1, 2.0, -v13
	v_fma_f32 v21, v21, 2.0, -v28
	v_fmamk_f32 v50, v16, 0xbf3504f3, v17
	v_fma_f32 v8, v8, 2.0, -v4
	v_fma_f32 v20, v29, 2.0, -v24
	;; [unrolled: 1-line block ×3, first 2 shown]
	v_sub_f32_e32 v49, v9, v1
	v_fmac_f32_e32 v50, 0xbf3504f3, v21
	v_add_f32_e32 v62, v5, v12
	v_fmamk_f32 v51, v21, 0xbf3504f3, v20
	v_sub_f32_e32 v48, v8, v0
	v_fma_f32 v58, v9, 2.0, -v49
	v_fma_f32 v59, v17, 2.0, -v50
	v_sub_f32_e32 v61, v4, v13
	v_sub_f32_e32 v0, v10, v30
	v_fma_f32 v17, v5, 2.0, -v62
	v_sub_f32_e32 v1, v11, v31
	v_sub_f32_e32 v5, v6, v26
	;; [unrolled: 1-line block ×4, first 2 shown]
	v_fmac_f32_e32 v51, 0x3f3504f3, v16
	v_fma_f32 v57, v8, 2.0, -v48
	v_fma_f32 v16, v4, 2.0, -v61
	;; [unrolled: 1-line block ×3, first 2 shown]
	v_sub_f32_e32 v8, v7, v27
	v_fma_f32 v10, v11, 2.0, -v1
	v_sub_f32_e32 v11, v3, v23
	v_fma_f32 v6, v6, 2.0, -v5
	v_fma_f32 v2, v2, 2.0, -v9
	v_sub_f32_e32 v13, v15, v19
	v_fma_f32 v14, v14, 2.0, -v12
	v_fma_f32 v7, v7, 2.0, -v8
	;; [unrolled: 1-line block ×3, first 2 shown]
	v_sub_f32_e32 v6, v4, v6
	v_sub_f32_e32 v8, v0, v8
	v_fma_f32 v15, v15, 2.0, -v13
	v_add_f32_e32 v5, v1, v5
	v_sub_f32_e32 v13, v9, v13
	v_sub_f32_e32 v14, v2, v14
	v_add_f32_e32 v12, v11, v12
	v_fmamk_f32 v64, v28, 0x3f3504f3, v24
	v_sub_f32_e32 v7, v10, v7
	v_fma_f32 v4, v4, 2.0, -v6
	v_fma_f32 v0, v0, 2.0, -v8
	v_sub_f32_e32 v15, v3, v15
	v_fma_f32 v1, v1, 2.0, -v5
	v_fma_f32 v9, v9, 2.0, -v13
	;; [unrolled: 1-line block ×5, first 2 shown]
	v_fmamk_f32 v63, v53, 0x3f3504f3, v25
	v_fmac_f32_e32 v64, 0x3f3504f3, v53
	v_fma_f32 v10, v10, 2.0, -v7
	v_fma_f32 v3, v3, 2.0, -v15
	v_fmamk_f32 v22, v9, 0xbf3504f3, v0
	v_sub_f32_e32 v20, v4, v2
	v_fmamk_f32 v23, v11, 0xbf3504f3, v1
	v_fmac_f32_e32 v63, 0xbf3504f3, v28
	v_sub_f32_e32 v21, v10, v3
	v_fma_f32 v19, v24, 2.0, -v64
	v_fmac_f32_e32 v22, 0xbf3504f3, v11
	v_fma_f32 v24, v4, 2.0, -v20
	v_fmac_f32_e32 v23, 0x3f3504f3, v9
	v_sub_f32_e32 v28, v6, v15
	v_fmamk_f32 v30, v13, 0x3f3504f3, v8
	v_add_f32_e32 v29, v7, v14
	v_sub_f32_e32 v4, v46, v44
	v_sub_f32_e32 v2, v37, v43
	;; [unrolled: 1-line block ×5, first 2 shown]
	v_fma_f32 v18, v25, 2.0, -v63
	v_fma_f32 v25, v10, 2.0, -v21
	;; [unrolled: 1-line block ×4, first 2 shown]
	v_fmamk_f32 v31, v12, 0x3f3504f3, v5
	v_fmac_f32_e32 v30, 0xbf3504f3, v12
	v_sub_f32_e32 v6, v47, v45
	v_sub_f32_e32 v1, v36, v42
	;; [unrolled: 1-line block ×3, first 2 shown]
	v_fma_f32 v3, v37, 2.0, -v2
	v_fma_f32 v15, v32, 2.0, -v11
	v_sub_f32_e32 v2, v4, v2
	v_fma_f32 v32, v33, 2.0, -v14
	v_sub_f32_e32 v33, v9, v14
	v_fma_f32 v26, v0, 2.0, -v22
	v_fma_f32 v66, v7, 2.0, -v29
	v_fmac_f32_e32 v31, 0x3f3504f3, v13
	v_fma_f32 v67, v8, 2.0, -v30
	v_fma_f32 v7, v46, 2.0, -v4
	;; [unrolled: 1-line block ×6, first 2 shown]
	v_add_f32_e32 v13, v1, v6
	v_fma_f32 v12, v4, 2.0, -v2
	v_add_f32_e32 v36, v11, v10
	v_fma_f32 v9, v9, 2.0, -v33
	v_sub_f32_e32 v0, v7, v0
	v_sub_f32_e32 v3, v8, v3
	v_fma_f32 v14, v6, 2.0, -v13
	v_sub_f32_e32 v37, v34, v15
	v_sub_f32_e32 v32, v35, v32
	v_fma_f32 v10, v10, 2.0, -v36
	v_fmamk_f32 v6, v9, 0xbf3504f3, v12
	v_add_co_u32 v56, null, 0xe0, v162
	v_add_co_u32 v52, null, 0x1c0, v162
	v_fma_f32 v1, v7, 2.0, -v0
	v_fma_f32 v15, v8, 2.0, -v3
	;; [unrolled: 1-line block ×4, first 2 shown]
	v_fmamk_f32 v7, v10, 0xbf3504f3, v14
	v_fmac_f32_e32 v6, 0xbf3504f3, v10
	v_fmamk_f32 v10, v33, 0x3f3504f3, v2
	v_lshlrev_b16 v34, 3, v162
	v_mov_b32_e32 v35, 3
	v_fmamk_f32 v11, v36, 0x3f3504f3, v13
	v_fma_f32 v68, v5, 2.0, -v31
	v_sub_f32_e32 v4, v1, v4
	v_sub_f32_e32 v5, v15, v8
	v_fmac_f32_e32 v7, 0x3f3504f3, v9
	v_sub_f32_e32 v8, v0, v32
	v_add_f32_e32 v9, v37, v3
	v_fmac_f32_e32 v10, 0xbf3504f3, v36
	v_lshlrev_b32_sdwa v166, v35, v34 dst_sel:DWORD dst_unused:UNUSED_PAD src0_sel:DWORD src1_sel:WORD_0
	v_fmac_f32_e32 v11, 0x3f3504f3, v33
	v_lshlrev_b32_e32 v167, 6, v56
	v_lshlrev_b32_e32 v165, 6, v52
	s_barrier
	buffer_gl0_inv
	ds_write_b128 v166, v[57:60]
	ds_write_b128 v166, v[16:19] offset:16
	ds_write_b128 v166, v[48:51] offset:32
	;; [unrolled: 1-line block ×3, first 2 shown]
	ds_write_b128 v167, v[24:27]
	ds_write_b128 v167, v[65:68] offset:16
	ds_write_b128 v167, v[20:23] offset:32
	;; [unrolled: 1-line block ×3, first 2 shown]
	s_and_saveexec_b32 s0, vcc_lo
	s_cbranch_execz .LBB0_7
; %bb.6:
	v_fma_f32 v22, v14, 2.0, -v7
	v_fma_f32 v21, v12, 2.0, -v6
	;; [unrolled: 1-line block ×8, first 2 shown]
	ds_write_b128 v165, v[19:22]
	ds_write_b128 v165, v[15:18] offset:16
	ds_write_b128 v165, v[4:7] offset:32
	;; [unrolled: 1-line block ×3, first 2 shown]
.LBB0_7:
	s_or_b32 exec_lo, exec_lo, s0
	v_add_nc_u32_e32 v0, 0x2400, v161
	v_add_nc_u32_e32 v1, 0x4900, v161
	s_waitcnt lgkmcnt(0)
	s_barrier
	buffer_gl0_inv
	ds_read2_b64 v[12:15], v161 offset1:224
	ds_read2_b64 v[24:27], v0 offset0:24 offset1:248
	ds_read2_b64 v[20:23], v1 offset0:16 offset1:240
	v_add_nc_u32_e32 v0, 0x6e00, v161
	v_add_nc_u32_e32 v1, 0xe00, v161
	;; [unrolled: 1-line block ×5, first 2 shown]
	ds_read2_b64 v[40:43], v0 offset0:8 offset1:232
	ds_read2_b64 v[16:19], v1 offset1:224
	ds_read2_b64 v[36:39], v2 offset0:24 offset1:248
	ds_read2_b64 v[32:35], v3 offset0:16 offset1:240
	;; [unrolled: 1-line block ×3, first 2 shown]
	ds_read_b64 v[50:51], v161 offset:16576
	ds_read_b64 v[46:47], v161 offset:25984
	;; [unrolled: 1-line block ×4, first 2 shown]
	s_load_dwordx2 s[2:3], s[4:5], 0x8
	v_cmp_gt_u16_e64 s0, 56, v162
	s_and_saveexec_b32 s1, s0
	s_cbranch_execz .LBB0_9
; %bb.8:
	ds_read_b64 v[6:7], v161 offset:18368
	ds_read_b64 v[8:9], v161 offset:27776
	;; [unrolled: 1-line block ×4, first 2 shown]
.LBB0_9:
	s_or_b32 exec_lo, exec_lo, s1
	v_and_b32_e32 v163, 7, v162
	v_lshlrev_b32_e32 v57, 2, v162
	v_lshlrev_b32_e32 v58, 2, v56
	;; [unrolled: 1-line block ×3, first 2 shown]
	v_add_co_u32 v55, null, 0x460, v162
	s_waitcnt lgkmcnt(0)
	v_mad_u64_u32 v[53:54], null, v163, 24, s[2:3]
	v_and_or_b32 v57, 0x3e0, v57, v163
	v_and_or_b32 v58, 0x7e0, v58, v163
	;; [unrolled: 1-line block ×3, first 2 shown]
	v_lshlrev_b32_e32 v164, 2, v55
	s_clause 0x1
	global_load_dwordx4 v[0:3], v[53:54], off
	global_load_dwordx2 v[149:150], v[53:54], off offset:16
	v_add_co_u32 v54, null, 0x2a0, v162
	v_add_co_u32 v53, null, 0x380, v162
	v_lshlrev_b32_e32 v172, 3, v57
	v_lshlrev_b32_e32 v60, 2, v54
	;; [unrolled: 1-line block ×5, first 2 shown]
	s_waitcnt vmcnt(0)
	v_and_or_b32 v57, 0xfe0, v60, v163
	s_barrier
	v_and_or_b32 v58, 0x1fe0, v61, v163
	buffer_gl0_inv
	v_lshlrev_b32_e32 v169, 3, v57
	v_lshlrev_b32_e32 v168, 3, v58
	v_mul_f32_e32 v57, v25, v1
	v_mul_f32_e32 v58, v24, v1
	;; [unrolled: 1-line block ×36, first 2 shown]
	v_fma_f32 v24, v24, v0, -v57
	v_fmac_f32_e32 v58, v25, v0
	v_fma_f32 v20, v20, v2, -v59
	v_fmac_f32_e32 v60, v21, v2
	;; [unrolled: 2-line block ×18, first 2 shown]
	v_sub_f32_e32 v20, v12, v20
	v_sub_f32_e32 v36, v13, v60
	v_sub_f32_e32 v8, v24, v21
	v_sub_f32_e32 v9, v58, v62
	v_sub_f32_e32 v22, v14, v22
	v_sub_f32_e32 v37, v15, v66
	v_sub_f32_e32 v10, v25, v23
	v_sub_f32_e32 v11, v64, v68
	v_sub_f32_e32 v27, v16, v27
	v_sub_f32_e32 v38, v17, v72
	v_sub_f32_e32 v21, v26, v28
	v_sub_f32_e32 v23, v70, v74
	v_sub_f32_e32 v32, v18, v32
	v_sub_f32_e32 v39, v19, v78
	v_sub_f32_e32 v28, v29, v30
	v_sub_f32_e32 v30, v76, v80
	v_sub_f32_e32 v40, v44, v33
	v_sub_f32_e32 v41, v45, v84
	v_sub_f32_e32 v33, v31, v34
	v_sub_f32_e32 v34, v82, v86
	v_sub_f32_e32 v42, v4, v6
	v_sub_f32_e32 v43, v5, v90
	v_sub_f32_e32 v46, v35, v7
	v_sub_f32_e32 v47, v88, v92
	v_fma_f32 v48, v12, 2.0, -v20
	v_fma_f32 v49, v13, 2.0, -v36
	;; [unrolled: 1-line block ×4, first 2 shown]
	v_sub_f32_e32 v6, v20, v9
	v_fma_f32 v51, v14, 2.0, -v22
	v_fma_f32 v57, v15, 2.0, -v37
	;; [unrolled: 1-line block ×12, first 2 shown]
	v_sub_f32_e32 v12, v32, v30
	v_fma_f32 v44, v44, 2.0, -v40
	v_fma_f32 v45, v45, 2.0, -v41
	;; [unrolled: 1-line block ×8, first 2 shown]
	v_sub_f32_e32 v104, v42, v47
	v_add_f32_e32 v105, v43, v46
	v_add_f32_e32 v7, v36, v8
	v_add_f32_e32 v9, v37, v10
	v_sub_f32_e32 v16, v48, v24
	v_sub_f32_e32 v17, v49, v50
	;; [unrolled: 1-line block ×4, first 2 shown]
	v_add_f32_e32 v11, v38, v21
	v_add_f32_e32 v13, v39, v28
	v_fma_f32 v18, v20, 2.0, -v6
	v_sub_f32_e32 v20, v51, v25
	v_sub_f32_e32 v21, v57, v58
	;; [unrolled: 1-line block ×3, first 2 shown]
	v_add_f32_e32 v15, v41, v33
	v_sub_f32_e32 v24, v59, v26
	v_sub_f32_e32 v25, v60, v61
	;; [unrolled: 1-line block ×4, first 2 shown]
	v_fma_f32 v30, v32, 2.0, -v12
	v_sub_f32_e32 v32, v44, v65
	v_sub_f32_e32 v33, v45, v66
	v_sub_f32_e32 v151, v4, v67
	v_sub_f32_e32 v152, v5, v68
	v_fma_f32 v106, v42, 2.0, -v104
	v_fma_f32 v107, v43, 2.0, -v105
	;; [unrolled: 1-line block ×20, first 2 shown]
	ds_write2_b64 v172, v[16:17], v[6:7] offset0:16 offset1:24
	ds_write2_b64 v172, v[36:37], v[18:19] offset1:8
	ds_write2_b64 v171, v[38:39], v[22:23] offset1:8
	ds_write2_b64 v171, v[20:21], v[8:9] offset0:16 offset1:24
	ds_write2_b64 v170, v[40:41], v[26:27] offset1:8
	ds_write2_b64 v170, v[24:25], v[10:11] offset0:16 offset1:24
	;; [unrolled: 2-line block ×4, first 2 shown]
	s_and_saveexec_b32 s1, s0
	s_cbranch_execz .LBB0_11
; %bb.10:
	v_and_or_b32 v6, 0x13e0, v164, v163
	v_fma_f32 v5, v5, 2.0, -v152
	v_fma_f32 v4, v4, 2.0, -v151
	v_lshlrev_b32_e32 v6, 3, v6
	ds_write2_b64 v6, v[4:5], v[106:107] offset1:8
	ds_write2_b64 v6, v[151:152], v[104:105] offset0:16 offset1:24
.LBB0_11:
	s_or_b32 exec_lo, exec_lo, s1
	v_and_b32_e32 v22, 31, v162
	s_waitcnt lgkmcnt(0)
	s_barrier
	buffer_gl0_inv
	v_add_nc_u32_e32 v81, 0xe00, v161
	v_mad_u64_u32 v[4:5], null, v22, 48, s[2:3]
	v_add_nc_u32_e32 v68, 0x2a00, v161
	v_add_nc_u32_e32 v84, 0x3800, v161
	;; [unrolled: 1-line block ×3, first 2 shown]
	v_lshrrev_b32_e32 v61, 5, v56
	v_lshrrev_b32_e32 v62, 5, v52
	v_lshrrev_b16 v63, 5, v52
	s_clause 0x2
	global_load_dwordx4 v[12:15], v[4:5], off offset:192
	global_load_dwordx4 v[8:11], v[4:5], off offset:208
	;; [unrolled: 1-line block ×3, first 2 shown]
	v_mov_b32_e32 v64, 0x2493
	v_add_nc_u32_e32 v80, 0x5400, v161
	v_add_nc_u32_e32 v72, 0x6200, v161
	ds_read2_b64 v[16:19], v161 offset1:224
	v_add_nc_u32_e32 v82, 0x7e00, v161
	v_add_nc_u32_e32 v83, 0x1c00, v161
	;; [unrolled: 1-line block ×3, first 2 shown]
	ds_read_b64 v[20:21], v161 offset:35840
	ds_read2_b64 v[23:26], v81 offset1:224
	ds_read2_b64 v[27:30], v68 offset1:224
	ds_read2_b64 v[31:34], v84 offset1:224
	ds_read2_b64 v[35:38], v80 offset1:224
	ds_read2_b64 v[39:42], v72 offset1:224
	ds_read2_b64 v[43:46], v82 offset1:224
	ds_read2_b64 v[47:50], v83 offset1:224
	ds_read2_b64 v[57:60], v85 offset1:224
	v_mul_u32_u24_e32 v67, 0xe0, v61
	v_mul_u32_u24_e32 v69, 0xe0, v62
	v_mul_u32_u24_sdwa v70, v63, v64 dst_sel:DWORD dst_unused:UNUSED_PAD src0_sel:WORD_0 src1_sel:DWORD
	ds_read2_b64 v[61:64], v86 offset1:224
	v_lshrrev_b32_e32 v51, 5, v162
	v_or_b32_e32 v67, v67, v22
	s_waitcnt vmcnt(0) lgkmcnt(0)
	s_barrier
	buffer_gl0_inv
	v_mul_u32_u24_e32 v51, 0xe0, v51
	v_lshlrev_b32_e32 v174, 3, v67
	v_mad_u64_u32 v[65:66], null, v162, 48, s[2:3]
	v_or_b32_e32 v51, v51, v22
	v_or_b32_e32 v22, v69, v22
	v_lshrrev_b32_e32 v69, 16, v70
	v_lshlrev_b32_e32 v175, 3, v51
	v_lshlrev_b32_e32 v173, 3, v22
	v_mul_lo_u16 v67, 0xe0, v69
	v_mul_f32_e32 v22, v26, v13
	v_mul_f32_e32 v51, v25, v13
	;; [unrolled: 1-line block ×36, first 2 shown]
	v_fma_f32 v22, v25, v12, -v22
	v_fmac_f32_e32 v51, v26, v12
	v_fma_f32 v25, v27, v14, -v69
	v_fmac_f32_e32 v70, v28, v14
	v_fma_f32 v26, v33, v8, -v71
	v_fma_f32 v28, v41, v4, -v76
	v_fmac_f32_e32 v77, v42, v4
	v_fma_f32 v33, v43, v6, -v78
	v_fmac_f32_e32 v79, v44, v6
	v_fmac_f32_e32 v73, v34, v8
	v_fma_f32 v27, v35, v10, -v74
	v_fmac_f32_e32 v75, v36, v10
	v_fma_f32 v34, v47, v12, -v87
	;; [unrolled: 2-line block ×4, first 2 shown]
	v_fma_f32 v36, v61, v4, -v95
	v_fmac_f32_e32 v96, v62, v4
	v_fma_f32 v37, v45, v6, -v97
	v_fmac_f32_e32 v98, v46, v6
	;; [unrolled: 2-line block ×3, first 2 shown]
	v_fmac_f32_e32 v94, v38, v10
	v_fma_f32 v38, v49, v12, -v99
	v_fmac_f32_e32 v100, v50, v12
	v_fma_f32 v31, v31, v14, -v101
	;; [unrolled: 2-line block ×6, first 2 shown]
	v_fmac_f32_e32 v176, v21, v6
	v_add_f32_e32 v21, v22, v33
	v_add_f32_e32 v41, v51, v79
	;; [unrolled: 1-line block ×4, first 2 shown]
	v_sub_f32_e32 v22, v22, v33
	v_sub_f32_e32 v33, v51, v79
	;; [unrolled: 1-line block ×4, first 2 shown]
	v_add_f32_e32 v44, v26, v27
	v_add_f32_e32 v45, v73, v75
	v_sub_f32_e32 v26, v27, v26
	v_sub_f32_e32 v27, v75, v73
	v_add_f32_e32 v46, v34, v37
	v_add_f32_e32 v47, v88, v98
	;; [unrolled: 1-line block ×4, first 2 shown]
	v_sub_f32_e32 v34, v34, v37
	v_sub_f32_e32 v37, v88, v98
	;; [unrolled: 1-line block ×4, first 2 shown]
	v_add_f32_e32 v50, v30, v35
	v_add_f32_e32 v51, v92, v94
	v_sub_f32_e32 v30, v35, v30
	v_sub_f32_e32 v35, v94, v92
	v_add_f32_e32 v57, v38, v20
	v_add_f32_e32 v58, v100, v176
	v_sub_f32_e32 v20, v38, v20
	v_sub_f32_e32 v38, v100, v176
	;; [unrolled: 4-line block ×5, first 2 shown]
	v_sub_f32_e32 v43, v45, v43
	v_add_f32_e32 v71, v26, v25
	v_add_f32_e32 v73, v27, v28
	v_sub_f32_e32 v74, v26, v25
	v_sub_f32_e32 v75, v27, v28
	v_sub_f32_e32 v25, v25, v22
	v_sub_f32_e32 v28, v28, v33
	v_add_f32_e32 v76, v48, v46
	v_add_f32_e32 v77, v49, v47
	v_sub_f32_e32 v69, v42, v21
	v_sub_f32_e32 v21, v21, v44
	;; [unrolled: 1-line block ×9, first 2 shown]
	v_add_f32_e32 v87, v30, v29
	v_add_f32_e32 v88, v35, v36
	v_sub_f32_e32 v89, v30, v29
	v_sub_f32_e32 v90, v35, v36
	v_sub_f32_e32 v29, v29, v34
	v_sub_f32_e32 v36, v36, v37
	v_add_f32_e32 v91, v59, v57
	v_add_f32_e32 v92, v60, v58
	v_sub_f32_e32 v93, v59, v57
	v_sub_f32_e32 v94, v60, v58
	v_sub_f32_e32 v57, v57, v61
	v_sub_f32_e32 v58, v58, v62
	;; [unrolled: 6-line block ×3, first 2 shown]
	v_add_f32_e32 v44, v44, v63
	v_add_f32_e32 v45, v45, v64
	v_sub_f32_e32 v26, v22, v26
	v_sub_f32_e32 v27, v33, v27
	v_add_f32_e32 v22, v71, v22
	v_add_f32_e32 v33, v73, v33
	v_mul_f32_e32 v41, 0x3f4a47b2, v41
	v_mul_f32_e32 v64, 0x3d64c772, v43
	;; [unrolled: 1-line block ×6, first 2 shown]
	v_add_f32_e32 v50, v50, v76
	v_add_f32_e32 v51, v51, v77
	v_sub_f32_e32 v30, v34, v30
	v_sub_f32_e32 v35, v37, v35
	;; [unrolled: 1-line block ×6, first 2 shown]
	v_mul_f32_e32 v21, 0x3f4a47b2, v21
	v_mul_f32_e32 v63, 0x3d64c772, v42
	v_add_f32_e32 v34, v87, v34
	v_add_f32_e32 v37, v88, v37
	v_mul_f32_e32 v46, 0x3f4a47b2, v46
	v_mul_f32_e32 v47, 0x3f4a47b2, v47
	;; [unrolled: 1-line block ×8, first 2 shown]
	v_add_f32_e32 v61, v61, v91
	v_add_f32_e32 v62, v62, v92
	;; [unrolled: 1-line block ×3, first 2 shown]
	v_mul_f32_e32 v57, 0x3f4a47b2, v57
	v_mul_f32_e32 v58, 0x3f4a47b2, v58
	;; [unrolled: 1-line block ×6, first 2 shown]
	v_add_f32_e32 v16, v16, v44
	v_add_f32_e32 v17, v17, v45
	v_fmamk_f32 v43, v43, 0x3d64c772, v41
	v_fma_f32 v64, 0x3f3bfb3b, v70, -v64
	v_fma_f32 v41, 0xbf3bfb3b, v70, -v41
	v_fmamk_f32 v70, v26, 0x3eae86e6, v71
	v_fmamk_f32 v100, v27, 0x3eae86e6, v73
	v_fma_f32 v71, 0x3f5ff5aa, v25, -v71
	v_fma_f32 v28, 0x3f5ff5aa, v28, -v73
	;; [unrolled: 1-line block ×4, first 2 shown]
	v_add_f32_e32 v18, v18, v50
	v_add_f32_e32 v19, v19, v51
	;; [unrolled: 1-line block ×3, first 2 shown]
	v_mul_f32_e32 v92, 0x3d64c772, v59
	v_mul_f32_e32 v95, 0x3d64c772, v60
	v_fmamk_f32 v42, v42, 0x3d64c772, v21
	v_fma_f32 v63, 0x3f3bfb3b, v69, -v63
	v_fma_f32 v69, 0xbf3bfb3b, v69, -v21
	v_fmamk_f32 v25, v48, 0x3d64c772, v46
	v_fmamk_f32 v26, v49, 0x3d64c772, v47
	v_fma_f32 v27, 0x3f3bfb3b, v78, -v76
	v_fma_f32 v48, 0x3f3bfb3b, v79, -v77
	;; [unrolled: 1-line block ×4, first 2 shown]
	v_fmamk_f32 v49, v30, 0x3eae86e6, v87
	v_fmamk_f32 v75, v35, 0x3eae86e6, v88
	v_fma_f32 v76, 0x3f5ff5aa, v29, -v87
	v_fma_f32 v77, 0x3f5ff5aa, v36, -v88
	;; [unrolled: 1-line block ×4, first 2 shown]
	v_add_f32_e32 v20, v23, v61
	v_add_f32_e32 v21, v24, v62
	v_fmamk_f32 v23, v59, 0x3d64c772, v57
	v_fmamk_f32 v24, v60, 0x3d64c772, v58
	v_fma_f32 v35, 0xbf3bfb3b, v93, -v57
	v_fma_f32 v36, 0xbf3bfb3b, v94, -v58
	v_fmamk_f32 v87, v32, 0x3eae86e6, v96
	v_fmamk_f32 v88, v39, 0x3eae86e6, v97
	v_fma_f32 v58, 0x3f5ff5aa, v31, -v96
	v_fma_f32 v57, 0x3f5ff5aa, v40, -v97
	;; [unrolled: 1-line block ×4, first 2 shown]
	v_fmamk_f32 v31, v44, 0xbf955555, v16
	v_fmamk_f32 v32, v45, 0xbf955555, v17
	v_fmac_f32_e32 v70, 0x3ee1c552, v22
	v_fmac_f32_e32 v100, 0x3ee1c552, v33
	v_fmac_f32_e32 v71, 0x3ee1c552, v22
	v_fmac_f32_e32 v28, 0x3ee1c552, v33
	v_fmac_f32_e32 v73, 0x3ee1c552, v22
	v_fmac_f32_e32 v74, 0x3ee1c552, v33
	v_fmamk_f32 v22, v50, 0xbf955555, v18
	v_fmamk_f32 v33, v51, 0xbf955555, v19
	v_fma_f32 v29, 0x3f3bfb3b, v93, -v92
	v_fma_f32 v30, 0x3f3bfb3b, v94, -v95
	v_fmac_f32_e32 v49, 0x3ee1c552, v34
	v_fmac_f32_e32 v75, 0x3ee1c552, v37
	;; [unrolled: 1-line block ×6, first 2 shown]
	v_fmamk_f32 v34, v61, 0xbf955555, v20
	v_fmamk_f32 v37, v62, 0xbf955555, v21
	v_fmac_f32_e32 v88, 0x3ee1c552, v38
	v_fmac_f32_e32 v57, 0x3ee1c552, v38
	;; [unrolled: 1-line block ×3, first 2 shown]
	v_add_f32_e32 v38, v42, v31
	v_add_f32_e32 v39, v43, v32
	;; [unrolled: 1-line block ×9, first 2 shown]
	v_fmac_f32_e32 v87, 0x3ee1c552, v91
	v_fmac_f32_e32 v58, 0x3ee1c552, v91
	;; [unrolled: 1-line block ×3, first 2 shown]
	v_add_f32_e32 v43, v48, v33
	v_add_f32_e32 v46, v46, v22
	;; [unrolled: 1-line block ×10, first 2 shown]
	v_sub_f32_e32 v23, v39, v70
	v_add_f32_e32 v24, v74, v31
	v_sub_f32_e32 v25, v32, v73
	v_sub_f32_e32 v26, v40, v28
	v_add_f32_e32 v27, v71, v42
	v_add_f32_e32 v28, v28, v40
	v_sub_f32_e32 v29, v42, v71
	v_sub_f32_e32 v30, v31, v74
	v_add_f32_e32 v31, v73, v32
	v_sub_f32_e32 v32, v38, v100
	v_add_f32_e32 v33, v70, v39
	v_add_f32_e32 v34, v75, v44
	v_sub_f32_e32 v35, v45, v49
	v_add_f32_e32 v40, v77, v41
	v_add_f32_e32 v36, v79, v46
	v_sub_f32_e32 v37, v47, v78
	v_sub_f32_e32 v38, v41, v77
	v_add_f32_e32 v39, v76, v43
	v_sub_f32_e32 v41, v43, v76
	v_sub_f32_e32 v42, v46, v79
	v_add_f32_e32 v43, v78, v47
	v_sub_f32_e32 v44, v44, v75
	v_add_f32_e32 v45, v49, v45
	v_add_f32_e32 v46, v88, v61
	v_sub_f32_e32 v47, v62, v87
	v_add_f32_e32 v48, v59, v69
	v_sub_f32_e32 v49, v89, v60
	v_sub_f32_e32 v50, v63, v57
	v_add_f32_e32 v51, v58, v64
	v_add_f32_e32 v57, v57, v63
	v_sub_f32_e32 v58, v64, v58
	v_sub_f32_e32 v59, v69, v59
	v_add_f32_e32 v60, v60, v89
	v_sub_f32_e32 v61, v61, v88
	v_add_f32_e32 v62, v87, v62
	ds_write2_b64 v175, v[16:17], v[22:23] offset1:32
	ds_write2_b64 v175, v[24:25], v[26:27] offset0:64 offset1:96
	ds_write2_b64 v175, v[28:29], v[30:31] offset0:128 offset1:160
	ds_write_b64 v175, v[32:33] offset:1536
	ds_write2_b64 v174, v[18:19], v[34:35] offset1:32
	ds_write2_b64 v174, v[36:37], v[38:39] offset0:64 offset1:96
	ds_write2_b64 v174, v[40:41], v[42:43] offset0:128 offset1:160
	ds_write_b64 v174, v[44:45] offset:1536
	;; [unrolled: 4-line block ×3, first 2 shown]
	v_sub_nc_u16 v40, v52, v67
	s_waitcnt lgkmcnt(0)
	s_barrier
	buffer_gl0_inv
	s_clause 0x1
	global_load_dwordx4 v[36:39], v[65:66], off offset:1728
	global_load_dwordx4 v[32:35], v[65:66], off offset:1744
	v_mul_lo_u16 v16, v40, 48
	global_load_dwordx4 v[28:31], v[65:66], off offset:1760
	v_mov_b32_e32 v41, 3
	v_lshlrev_b32_e32 v45, 4, v56
	v_lshlrev_b32_e32 v44, 4, v162
	v_and_b32_e32 v16, 0xffff, v16
	v_lshlrev_b32_sdwa v176, v41, v40 dst_sel:DWORD dst_unused:UNUSED_PAD src0_sel:DWORD src1_sel:WORD_0
	v_add_co_u32 v16, s1, s2, v16
	v_add_co_ci_u32_e64 v17, null, s3, 0, s1
	s_clause 0x2
	global_load_dwordx4 v[24:27], v[16:17], off offset:1728
	global_load_dwordx4 v[20:23], v[16:17], off offset:1744
	;; [unrolled: 1-line block ×3, first 2 shown]
	ds_read2_b64 v[40:43], v81 offset1:224
	ds_read2_b64 v[48:51], v68 offset1:224
	;; [unrolled: 1-line block ×10, first 2 shown]
	ds_read_b64 v[69:70], v161 offset:35840
	v_add_co_u32 v46, s1, s2, v44
	v_add_co_ci_u32_e64 v47, null, s3, 0, s1
	v_add_nc_u32_e32 v71, 0x6200, v176
	v_add_nc_u32_e32 v79, 0x7000, v176
	;; [unrolled: 1-line block ×3, first 2 shown]
	s_waitcnt vmcnt(0) lgkmcnt(0)
	s_barrier
	buffer_gl0_inv
	v_add_nc_u32_e32 v44, 0x5400, v44
	v_mul_f32_e32 v77, v43, v37
	v_mul_f32_e32 v78, v42, v37
	;; [unrolled: 1-line block ×35, first 2 shown]
	v_fma_f32 v42, v42, v36, -v77
	v_fmac_f32_e32 v78, v43, v36
	v_fma_f32 v43, v48, v38, -v153
	v_fmac_f32_e32 v154, v49, v38
	;; [unrolled: 2-line block ×5, first 2 shown]
	v_mul_f32_e32 v198, v97, v21
	v_fma_f32 v49, v60, v34, -v157
	v_fmac_f32_e32 v158, v61, v34
	v_fma_f32 v60, v87, v36, -v181
	v_fmac_f32_e32 v182, v88, v36
	;; [unrolled: 2-line block ×9, first 2 shown]
	v_fma_f32 v57, v97, v20, -v197
	v_fma_f32 v64, v64, v22, -v199
	v_fmac_f32_e32 v200, v65, v22
	v_fma_f32 v65, v101, v16, -v201
	v_fmac_f32_e32 v202, v102, v16
	;; [unrolled: 2-line block ×3, first 2 shown]
	v_add_f32_e32 v69, v42, v59
	v_add_f32_e32 v70, v78, v180
	;; [unrolled: 1-line block ×4, first 2 shown]
	v_fmac_f32_e32 v198, v98, v20
	v_sub_f32_e32 v42, v42, v59
	v_sub_f32_e32 v59, v78, v180
	;; [unrolled: 1-line block ×4, first 2 shown]
	v_add_f32_e32 v75, v48, v49
	v_add_f32_e32 v76, v156, v158
	v_sub_f32_e32 v48, v49, v48
	v_sub_f32_e32 v49, v158, v156
	v_add_f32_e32 v77, v60, v63
	v_add_f32_e32 v78, v182, v192
	;; [unrolled: 1-line block ×4, first 2 shown]
	v_sub_f32_e32 v60, v60, v63
	v_sub_f32_e32 v63, v182, v192
	;; [unrolled: 1-line block ×4, first 2 shown]
	v_add_f32_e32 v89, v51, v61
	v_add_f32_e32 v90, v186, v188
	v_sub_f32_e32 v51, v61, v51
	v_sub_f32_e32 v61, v188, v186
	v_add_f32_e32 v95, v66, v67
	v_add_f32_e32 v96, v194, v204
	v_sub_f32_e32 v66, v66, v67
	v_add_f32_e32 v97, v56, v65
	v_add_f32_e32 v98, v196, v202
	v_sub_f32_e32 v56, v56, v65
	v_add_f32_e32 v99, v57, v64
	v_sub_f32_e32 v57, v64, v57
	v_add_f32_e32 v101, v73, v69
	v_add_f32_e32 v102, v74, v70
	v_sub_f32_e32 v67, v194, v204
	v_sub_f32_e32 v65, v196, v202
	v_add_f32_e32 v100, v198, v200
	v_sub_f32_e32 v64, v200, v198
	v_sub_f32_e32 v153, v73, v69
	;; [unrolled: 1-line block ×7, first 2 shown]
	v_add_f32_e32 v155, v48, v43
	v_add_f32_e32 v156, v49, v58
	v_sub_f32_e32 v157, v48, v43
	v_sub_f32_e32 v158, v49, v58
	;; [unrolled: 1-line block ×4, first 2 shown]
	v_add_f32_e32 v43, v87, v77
	v_add_f32_e32 v178, v88, v78
	v_sub_f32_e32 v179, v87, v77
	v_sub_f32_e32 v180, v88, v78
	;; [unrolled: 1-line block ×6, first 2 shown]
	v_add_f32_e32 v181, v51, v50
	v_add_f32_e32 v182, v61, v62
	v_sub_f32_e32 v183, v51, v50
	v_sub_f32_e32 v184, v61, v62
	;; [unrolled: 1-line block ×4, first 2 shown]
	v_add_f32_e32 v185, v97, v95
	v_add_f32_e32 v186, v98, v96
	v_sub_f32_e32 v187, v97, v95
	v_sub_f32_e32 v95, v95, v99
	v_add_f32_e32 v189, v57, v56
	v_sub_f32_e32 v191, v57, v56
	v_sub_f32_e32 v56, v56, v66
	v_add_f32_e32 v75, v75, v101
	v_add_f32_e32 v76, v76, v102
	v_sub_f32_e32 v188, v98, v96
	v_sub_f32_e32 v96, v96, v100
	v_add_f32_e32 v190, v64, v65
	v_sub_f32_e32 v192, v64, v65
	v_sub_f32_e32 v65, v65, v67
	;; [unrolled: 1-line block ×4, first 2 shown]
	v_add_f32_e32 v101, v155, v42
	v_add_f32_e32 v59, v156, v59
	v_mul_f32_e32 v69, 0x3f4a47b2, v69
	v_mul_f32_e32 v70, 0x3f4a47b2, v70
	;; [unrolled: 1-line block ×8, first 2 shown]
	v_add_f32_e32 v89, v89, v43
	v_add_f32_e32 v90, v90, v178
	v_sub_f32_e32 v51, v60, v51
	v_sub_f32_e32 v61, v63, v61
	;; [unrolled: 1-line block ×5, first 2 shown]
	v_add_f32_e32 v60, v181, v60
	v_add_f32_e32 v63, v182, v63
	v_mul_f32_e32 v77, 0x3f4a47b2, v77
	v_mul_f32_e32 v78, 0x3f4a47b2, v78
	;; [unrolled: 1-line block ×8, first 2 shown]
	v_add_f32_e32 v99, v99, v185
	v_add_f32_e32 v100, v100, v186
	;; [unrolled: 1-line block ×3, first 2 shown]
	v_mul_f32_e32 v95, 0x3f4a47b2, v95
	v_mul_f32_e32 v189, 0xbf08b237, v191
	;; [unrolled: 1-line block ×3, first 2 shown]
	v_add_f32_e32 v42, v91, v75
	v_add_f32_e32 v43, v92, v76
	v_sub_f32_e32 v64, v67, v64
	v_add_f32_e32 v67, v190, v67
	v_mul_f32_e32 v96, 0x3f4a47b2, v96
	v_mul_f32_e32 v190, 0xbf08b237, v192
	;; [unrolled: 1-line block ×3, first 2 shown]
	v_fmamk_f32 v73, v73, 0x3d64c772, v69
	v_fmamk_f32 v74, v74, 0x3d64c772, v70
	v_fma_f32 v91, 0x3f3bfb3b, v153, -v102
	v_fma_f32 v92, 0x3f3bfb3b, v154, -v155
	;; [unrolled: 1-line block ×4, first 2 shown]
	v_fmamk_f32 v102, v48, 0x3eae86e6, v156
	v_fmamk_f32 v153, v49, 0x3eae86e6, v157
	v_fma_f32 v154, 0x3f5ff5aa, v177, -v156
	v_fma_f32 v155, 0x3f5ff5aa, v58, -v157
	;; [unrolled: 1-line block ×4, first 2 shown]
	v_add_f32_e32 v48, v93, v89
	v_add_f32_e32 v49, v94, v90
	v_mul_f32_e32 v185, 0x3d64c772, v97
	v_mul_f32_e32 v186, 0x3d64c772, v98
	v_fmamk_f32 v58, v87, 0x3d64c772, v77
	v_fmamk_f32 v87, v88, 0x3d64c772, v78
	v_fma_f32 v88, 0x3f3bfb3b, v179, -v178
	v_fma_f32 v93, 0x3f3bfb3b, v180, -v181
	;; [unrolled: 1-line block ×4, first 2 shown]
	v_fmamk_f32 v94, v51, 0x3eae86e6, v182
	v_fmamk_f32 v158, v61, 0x3eae86e6, v183
	v_fma_f32 v177, 0x3f5ff5aa, v50, -v182
	v_fma_f32 v178, 0x3f5ff5aa, v62, -v183
	;; [unrolled: 1-line block ×4, first 2 shown]
	v_add_f32_e32 v40, v40, v99
	v_add_f32_e32 v41, v41, v100
	v_fmamk_f32 v50, v97, 0x3d64c772, v95
	v_fmamk_f32 v181, v57, 0x3eae86e6, v189
	v_fma_f32 v97, 0x3f5ff5aa, v56, -v189
	v_fma_f32 v183, 0xbeae86e6, v57, -v191
	v_fmamk_f32 v56, v75, 0xbf955555, v42
	v_fmamk_f32 v57, v76, 0xbf955555, v43
	;; [unrolled: 1-line block ×4, first 2 shown]
	v_fma_f32 v98, 0x3f5ff5aa, v65, -v190
	v_fma_f32 v184, 0xbeae86e6, v64, -v192
	v_fmac_f32_e32 v153, 0x3ee1c552, v59
	v_fmac_f32_e32 v155, 0x3ee1c552, v59
	;; [unrolled: 1-line block ×3, first 2 shown]
	v_fmamk_f32 v59, v89, 0xbf955555, v48
	v_fmamk_f32 v64, v90, 0xbf955555, v49
	v_fma_f32 v61, 0x3f3bfb3b, v187, -v185
	v_fma_f32 v62, 0x3f3bfb3b, v188, -v186
	;; [unrolled: 1-line block ×4, first 2 shown]
	v_fmac_f32_e32 v102, 0x3ee1c552, v101
	v_fmac_f32_e32 v94, 0x3ee1c552, v60
	;; [unrolled: 1-line block ×7, first 2 shown]
	v_fmamk_f32 v60, v99, 0xbf955555, v40
	v_fmamk_f32 v63, v100, 0xbf955555, v41
	v_fmac_f32_e32 v181, 0x3ee1c552, v66
	v_fmac_f32_e32 v97, 0x3ee1c552, v66
	;; [unrolled: 1-line block ×3, first 2 shown]
	v_add_f32_e32 v65, v73, v56
	v_add_f32_e32 v66, v74, v57
	v_fmac_f32_e32 v154, 0x3ee1c552, v101
	v_fmac_f32_e32 v156, 0x3ee1c552, v101
	;; [unrolled: 1-line block ×5, first 2 shown]
	v_add_f32_e32 v67, v91, v56
	v_add_f32_e32 v73, v92, v57
	;; [unrolled: 1-line block ×17, first 2 shown]
	v_sub_f32_e32 v51, v66, v102
	v_add_f32_e32 v56, v157, v69
	v_sub_f32_e32 v57, v70, v156
	v_sub_f32_e32 v58, v67, v155
	v_add_f32_e32 v59, v154, v73
	v_add_f32_e32 v60, v155, v67
	v_sub_f32_e32 v61, v73, v154
	v_sub_f32_e32 v62, v69, v157
	v_add_f32_e32 v63, v156, v70
	v_sub_f32_e32 v64, v65, v153
	v_add_f32_e32 v65, v102, v66
	v_add_f32_e32 v66, v158, v89
	v_sub_f32_e32 v67, v90, v94
	v_add_f32_e32 v69, v180, v77
	v_sub_f32_e32 v70, v78, v179
	v_sub_f32_e32 v73, v75, v178
	v_add_f32_e32 v74, v177, v76
	v_add_f32_e32 v75, v178, v75
	v_sub_f32_e32 v76, v76, v177
	v_sub_f32_e32 v77, v77, v180
	v_add_f32_e32 v78, v179, v78
	v_sub_f32_e32 v87, v89, v158
	v_add_f32_e32 v88, v94, v90
	v_add_f32_e32 v89, v182, v99
	v_sub_f32_e32 v90, v100, v181
	v_add_f32_e32 v91, v184, v186
	v_sub_f32_e32 v92, v187, v183
	v_sub_f32_e32 v93, v101, v98
	v_add_f32_e32 v94, v97, v185
	v_add_f32_e32 v95, v98, v101
	v_sub_f32_e32 v96, v185, v97
	v_sub_f32_e32 v97, v186, v184
	v_add_f32_e32 v98, v183, v187
	v_sub_f32_e32 v99, v99, v182
	v_add_f32_e32 v100, v181, v100
	ds_write2_b64 v161, v[42:43], v[50:51] offset1:224
	ds_write2_b64 v81, v[56:57], v[58:59] offset1:224
	ds_write2_b64 v83, v[60:61], v[62:63] offset1:224
	ds_write2_b64 v68, v[64:65], v[48:49] offset1:224
	ds_write2_b64 v84, v[66:67], v[69:70] offset1:224
	ds_write2_b64 v85, v[73:74], v[75:76] offset1:224
	ds_write2_b64 v80, v[77:78], v[87:88] offset1:224
	ds_write2_b64 v71, v[40:41], v[89:90] offset1:224
	ds_write2_b64 v79, v[91:92], v[93:94] offset1:224
	ds_write2_b64 v103, v[95:96], v[97:98] offset1:224
	ds_write_b64 v176, v[99:100] offset:35840
	v_add_co_u32 v40, s1, 0x3000, v46
	v_add_co_ci_u32_e64 v41, s1, 0, v47, s1
	v_add_co_u32 v42, s1, s2, v45
	v_add_co_ci_u32_e64 v43, null, s3, 0, s1
	v_lshlrev_b32_e32 v45, 4, v52
	v_add_co_u32 v42, s1, 0x3000, v42
	v_add_co_ci_u32_e64 v43, s1, 0, v43, s1
	v_add_co_u32 v45, s1, s2, v45
	v_add_co_ci_u32_e64 v46, null, s3, 0, s1
	v_lshlrev_b32_e32 v47, 4, v54
	v_add_co_u32 v45, s1, 0x3000, v45
	v_lshlrev_b32_e32 v48, 4, v53
	v_add_co_ci_u32_e64 v46, s1, 0, v46, s1
	v_add_co_u32 v47, s1, s2, v47
	v_add_co_ci_u32_e64 v49, null, s3, 0, s1
	v_add_co_u32 v50, s1, s2, v48
	v_add_co_ci_u32_e64 v51, null, s3, 0, s1
	v_add_co_u32 v47, s1, 0x3000, v47
	v_add_co_ci_u32_e64 v48, s1, 0, v49, s1
	v_add_co_u32 v52, s1, 0x3000, v50
	v_lshlrev_b32_e32 v54, 4, v55
	v_add_co_ci_u32_e64 v53, s1, 0, v51, s1
	s_waitcnt lgkmcnt(0)
	s_barrier
	buffer_gl0_inv
	s_clause 0x4
	global_load_dwordx4 v[64:67], v[40:41], off offset:192
	global_load_dwordx4 v[56:59], v[42:43], off offset:192
	;; [unrolled: 1-line block ×5, first 2 shown]
	v_add_co_u32 v45, s1, s2, v54
	v_add_co_ci_u32_e64 v46, null, s3, 0, s1
	v_add_co_u32 v47, s1, s2, v44
	v_add_co_ci_u32_e64 v52, null, s3, 0, s1
	v_add_co_u32 v44, s1, 0x3000, v45
	v_add_co_ci_u32_e64 v45, s1, 0, v46, s1
	v_add_co_u32 v46, s1, 0x3000, v47
	v_add_co_ci_u32_e64 v47, s1, 0, v52, s1
	s_clause 0x1
	global_load_dwordx4 v[52:55], v[44:45], off offset:192
	global_load_dwordx4 v[44:47], v[46:47], off offset:192
	ds_read2_b64 v[68:71], v68 offset1:224
	ds_read2_b64 v[87:90], v72 offset1:224
	ds_read2_b64 v[91:94], v84 offset1:224
	ds_read2_b64 v[95:98], v86 offset1:224
	ds_read2_b64 v[99:102], v85 offset1:224
	ds_read2_b64 v[177:180], v161 offset1:224
	ds_read2_b64 v[181:184], v81 offset1:224
	ds_read2_b64 v[72:75], v83 offset1:224
	ds_read2_b64 v[153:156], v82 offset1:224
	ds_read2_b64 v[185:188], v80 offset1:224
	ds_read_b64 v[157:158], v161 offset:35840
	v_add_co_u32 v76, s1, 0x9000, v159
	v_add_co_ci_u32_e64 v77, s1, 0, v160, s1
	v_add_co_u32 v78, s1, 0x9300, v159
	v_add_co_ci_u32_e64 v79, s1, 0, v160, s1
	;; [unrolled: 2-line block ×5, first 2 shown]
	s_waitcnt vmcnt(6) lgkmcnt(10)
	v_mul_f32_e32 v103, v71, v65
	v_mul_f32_e32 v195, v70, v65
	s_waitcnt lgkmcnt(9)
	v_mul_f32_e32 v196, v88, v67
	v_mul_f32_e32 v197, v87, v67
	s_waitcnt vmcnt(5) lgkmcnt(8)
	v_mul_f32_e32 v198, v92, v57
	v_mul_f32_e32 v199, v91, v57
	v_mul_f32_e32 v200, v90, v59
	v_mul_f32_e32 v201, v89, v59
	s_waitcnt vmcnt(4)
	v_mul_f32_e32 v202, v94, v61
	v_mul_f32_e32 v203, v93, v61
	s_waitcnt lgkmcnt(7)
	v_mul_f32_e32 v204, v96, v63
	v_mul_f32_e32 v205, v95, v63
	s_waitcnt vmcnt(3) lgkmcnt(6)
	v_mul_f32_e32 v206, v100, v49
	v_mul_f32_e32 v207, v99, v49
	v_mul_f32_e32 v208, v98, v51
	v_mul_f32_e32 v209, v97, v51
	s_waitcnt vmcnt(2)
	;; [unrolled: 11-line block ×3, first 2 shown]
	v_mul_f32_e32 v218, v188, v45
	v_mul_f32_e32 v219, v187, v45
	s_waitcnt lgkmcnt(0)
	v_mul_f32_e32 v220, v158, v47
	v_mul_f32_e32 v221, v157, v47
	v_fma_f32 v70, v70, v64, -v103
	v_fmac_f32_e32 v195, v71, v64
	v_fma_f32 v71, v87, v66, -v196
	v_fmac_f32_e32 v197, v88, v66
	;; [unrolled: 2-line block ×14, first 2 shown]
	v_add_f32_e32 v98, v70, v71
	v_add_f32_e32 v103, v195, v197
	v_add_f32_e32 v154, v87, v89
	v_add_f32_e32 v158, v199, v201
	v_add_f32_e32 v187, v88, v91
	v_add_f32_e32 v196, v203, v205
	v_sub_f32_e32 v102, v195, v197
	v_sub_f32_e32 v155, v70, v71
	v_add_f32_e32 v153, v179, v87
	v_sub_f32_e32 v185, v87, v89
	v_add_f32_e32 v186, v181, v88
	;; [unrolled: 2-line block ×3, first 2 shown]
	v_add_f32_e32 v204, v207, v209
	v_add_f32_e32 v208, v92, v97
	v_sub_f32_e32 v210, v211, v213
	v_add_f32_e32 v212, v73, v211
	v_add_f32_e32 v211, v211, v213
	v_add_f32_e32 v218, v93, v99
	v_sub_f32_e32 v220, v215, v217
	v_add_f32_e32 v222, v75, v215
	v_add_f32_e32 v215, v215, v217
	;; [unrolled: 1-line block ×4, first 2 shown]
	v_sub_f32_e32 v226, v219, v221
	v_add_f32_e32 v227, v69, v219
	v_add_f32_e32 v219, v219, v221
	v_fma_f32 v87, -0.5, v98, v177
	v_fma_f32 v88, -0.5, v103, v178
	v_add_f32_e32 v96, v177, v70
	v_add_f32_e32 v100, v178, v195
	;; [unrolled: 1-line block ×3, first 2 shown]
	v_sub_f32_e32 v156, v199, v201
	v_fma_f32 v179, -0.5, v154, v179
	v_fmac_f32_e32 v180, -0.5, v158
	v_sub_f32_e32 v188, v203, v205
	v_add_f32_e32 v216, v74, v93
	v_sub_f32_e32 v223, v93, v99
	v_sub_f32_e32 v228, v94, v101
	v_fma_f32 v93, -0.5, v187, v181
	v_fma_f32 v94, -0.5, v196, v182
	v_add_f32_e32 v195, v182, v203
	v_add_f32_e32 v199, v183, v90
	v_sub_f32_e32 v202, v207, v209
	v_add_f32_e32 v203, v184, v207
	v_sub_f32_e32 v206, v90, v95
	;; [unrolled: 2-line block ×3, first 2 shown]
	v_add_f32_e32 v89, v153, v89
	v_fma_f32 v183, -0.5, v200, v183
	v_fmac_f32_e32 v184, -0.5, v204
	v_fma_f32 v72, -0.5, v208, v72
	v_fma_f32 v73, -0.5, v211, v73
	;; [unrolled: 1-line block ×3, first 2 shown]
	v_fmac_f32_e32 v75, -0.5, v215
	v_add_f32_e32 v153, v224, v101
	v_fma_f32 v68, -0.5, v225, v68
	v_fmac_f32_e32 v69, -0.5, v219
	v_fmamk_f32 v101, v102, 0x3f5db3d7, v87
	v_fmac_f32_e32 v87, 0xbf5db3d7, v102
	v_fmamk_f32 v102, v155, 0xbf5db3d7, v88
	v_fmac_f32_e32 v88, 0x3f5db3d7, v155
	v_add_f32_e32 v70, v96, v71
	v_add_f32_e32 v71, v100, v197
	;; [unrolled: 1-line block ×3, first 2 shown]
	v_fmamk_f32 v177, v156, 0x3f5db3d7, v179
	v_fmac_f32_e32 v179, 0xbf5db3d7, v156
	v_fmamk_f32 v178, v185, 0xbf5db3d7, v180
	v_fmac_f32_e32 v180, 0x3f5db3d7, v185
	v_fmamk_f32 v181, v188, 0x3f5db3d7, v93
	v_fmamk_f32 v182, v198, 0xbf5db3d7, v94
	v_add_f32_e32 v91, v186, v91
	v_add_f32_e32 v92, v195, v205
	;; [unrolled: 1-line block ×9, first 2 shown]
	v_fmac_f32_e32 v93, 0xbf5db3d7, v188
	v_fmac_f32_e32 v94, 0x3f5db3d7, v198
	v_fmamk_f32 v185, v202, 0x3f5db3d7, v183
	v_fmac_f32_e32 v183, 0xbf5db3d7, v202
	v_fmamk_f32 v186, v206, 0xbf5db3d7, v184
	v_fmac_f32_e32 v184, 0x3f5db3d7, v206
	v_fmamk_f32 v187, v210, 0x3f5db3d7, v72
	v_fmac_f32_e32 v72, 0xbf5db3d7, v210
	v_fmamk_f32 v188, v214, 0xbf5db3d7, v73
	v_fmac_f32_e32 v73, 0x3f5db3d7, v214
	v_fmamk_f32 v157, v220, 0x3f5db3d7, v74
	v_fmac_f32_e32 v74, 0xbf5db3d7, v220
	v_fmamk_f32 v158, v223, 0xbf5db3d7, v75
	v_fmac_f32_e32 v75, 0x3f5db3d7, v223
	v_fmamk_f32 v155, v226, 0x3f5db3d7, v68
	v_fmac_f32_e32 v68, 0xbf5db3d7, v226
	v_fmamk_f32 v156, v228, 0xbf5db3d7, v69
	v_fmac_f32_e32 v69, 0x3f5db3d7, v228
	ds_write_b64 v161, v[101:102] offset:12544
	ds_write_b64 v161, v[87:88] offset:25088
	ds_write2_b64 v161, v[70:71], v[89:90] offset1:224
	ds_write_b64 v161, v[179:180] offset:26880
	ds_write2_b64 v84, v[177:178], v[181:182] offset1:224
	ds_write2_b64 v81, v[91:92], v[95:96] offset1:224
	;; [unrolled: 1-line block ×6, first 2 shown]
	ds_write_b64 v161, v[153:154] offset:10752
	ds_write2_b64 v80, v[157:158], v[155:156] offset1:224
	ds_write_b64 v161, v[68:69] offset:35840
	s_waitcnt lgkmcnt(0)
	s_barrier
	buffer_gl0_inv
	global_load_dwordx2 v[76:77], v[76:77], off offset:768
	v_add_co_u32 v70, s1, 0xd800, v159
	v_add_co_ci_u32_e64 v71, s1, 0, v160, s1
	v_add_co_u32 v72, s1, 0x11000, v159
	v_add_co_ci_u32_e64 v73, s1, 0, v160, s1
	;; [unrolled: 2-line block ×3, first 2 shown]
	v_add_co_u32 v82, s1, 0xe800, v159
	s_clause 0x2
	global_load_dwordx2 v[90:91], v[189:190], off offset:1376
	global_load_dwordx2 v[102:103], v[191:192], off offset:1984
	;; [unrolled: 1-line block ×3, first 2 shown]
	v_add_co_ci_u32_e64 v83, s1, 0, v160, s1
	v_add_co_u32 v84, s1, 0xb800, v159
	v_add_co_ci_u32_e64 v85, s1, 0, v160, s1
	v_add_co_u32 v86, s1, 0x10000, v159
	;; [unrolled: 2-line block ×4, first 2 shown]
	v_add_co_ci_u32_e64 v93, s1, 0, v160, s1
	global_load_dwordx2 v[189:190], v[80:81], off offset:1120
	v_add_co_u32 v80, s1, 0xf000, v159
	v_add_co_ci_u32_e64 v81, s1, 0, v160, s1
	s_clause 0x3
	global_load_dwordx2 v[191:192], v[193:194], off offset:544
	global_load_dwordx2 v[193:194], v[84:85], off offset:1728
	global_load_dwordx2 v[195:196], v[70:71], off offset:1152
	global_load_dwordx2 v[197:198], v[82:83], off offset:1760
	v_add_co_u32 v70, s1, 0x10800, v159
	v_add_co_ci_u32_e64 v71, s1, 0, v160, s1
	s_clause 0x3
	global_load_dwordx2 v[199:200], v[86:87], off offset:320
	global_load_dwordx2 v[201:202], v[88:89], off offset:288
	global_load_dwordx2 v[203:204], v[72:73], off offset:928
	;; [unrolled: 7-line block ×3, first 2 shown]
	ds_read2_b64 v[70:73], v161 offset1:224
	v_add_nc_u32_e32 v89, 0x4900, v161
	v_add_nc_u32_e32 v88, 0x5b00, v161
	;; [unrolled: 1-line block ×4, first 2 shown]
	s_waitcnt vmcnt(15) lgkmcnt(0)
	v_mul_f32_e32 v80, v71, v77
	v_mul_f32_e32 v81, v70, v77
	v_add_nc_u32_e32 v77, 0x3700, v161
	v_fma_f32 v80, v70, v76, -v80
	v_fmac_f32_e32 v81, v71, v76
	v_add_nc_u32_e32 v70, 0x1200, v161
	v_add_nc_u32_e32 v76, 0x2400, v161
	ds_write_b64 v161, v[80:81]
	ds_read2_b64 v[80:83], v70 offset0:12 offset1:236
	ds_read2_b64 v[84:87], v76 offset0:24 offset1:248
	;; [unrolled: 1-line block ×3, first 2 shown]
	s_waitcnt vmcnt(12)
	v_mul_f32_e32 v71, v73, v182
	v_mul_f32_e32 v214, v72, v182
	ds_read2_b64 v[98:101], v89 offset0:16 offset1:240
	ds_read2_b64 v[177:180], v88 offset0:28 offset1:252
	v_fma_f32 v213, v72, v181, -v71
	v_fmac_f32_e32 v214, v73, v181
	ds_read2_b64 v[181:184], v93 offset0:8 offset1:232
	ds_read2_b64 v[185:188], v92 offset0:20 offset1:244
	ds_write_b64 v161, v[213:214] offset:1792
	s_waitcnt lgkmcnt(7)
	v_mul_f32_e32 v71, v81, v91
	v_mul_f32_e32 v72, v80, v91
	s_waitcnt vmcnt(11)
	v_mul_f32_e32 v73, v83, v190
	v_mul_f32_e32 v91, v82, v190
	s_waitcnt lgkmcnt(6)
	v_mul_f32_e32 v214, v85, v103
	v_mul_f32_e32 v190, v84, v103
	s_waitcnt vmcnt(9)
	v_mul_f32_e32 v218, v87, v194
	v_mul_f32_e32 v213, v86, v194
	;; [unrolled: 6-line block ×3, first 2 shown]
	s_waitcnt lgkmcnt(4)
	v_mul_f32_e32 v217, v99, v196
	v_mul_f32_e32 v192, v98, v196
	s_waitcnt lgkmcnt(2)
	v_mul_f32_e32 v220, v182, v200
	v_mul_f32_e32 v196, v181, v200
	s_waitcnt vmcnt(3)
	v_mul_f32_e32 v223, v101, v206
	v_mul_f32_e32 v200, v100, v206
	;; [unrolled: 1-line block ×4, first 2 shown]
	s_waitcnt vmcnt(2)
	v_mul_f32_e32 v224, v180, v208
	v_mul_f32_e32 v202, v179, v208
	s_waitcnt lgkmcnt(1)
	v_mul_f32_e32 v222, v186, v204
	v_mul_f32_e32 v198, v185, v204
	s_waitcnt vmcnt(1)
	v_mul_f32_e32 v208, v184, v210
	v_mul_f32_e32 v204, v183, v210
	s_waitcnt vmcnt(0)
	v_mul_f32_e32 v210, v188, v212
	v_mul_f32_e32 v206, v187, v212
	v_fma_f32 v71, v80, v90, -v71
	v_fmac_f32_e32 v72, v81, v90
	v_fma_f32 v90, v82, v189, -v73
	v_fmac_f32_e32 v91, v83, v189
	;; [unrolled: 2-line block ×14, first 2 shown]
	ds_write2_b64 v70, v[71:72], v[90:91] offset0:12 offset1:236
	ds_write2_b64 v76, v[189:190], v[212:213] offset0:24 offset1:248
	;; [unrolled: 1-line block ×7, first 2 shown]
	s_and_saveexec_b32 s2, vcc_lo
	s_cbranch_execz .LBB0_13
; %bb.12:
	v_add_co_u32 v71, s1, 0x800, v78
	v_add_co_ci_u32_e64 v72, s1, 0, v79, s1
	v_add_co_u32 v80, s1, 0x2000, v78
	v_add_co_ci_u32_e64 v81, s1, 0, v79, s1
	;; [unrolled: 2-line block ×8, first 2 shown]
	s_clause 0x7
	global_load_dwordx2 v[71:72], v[71:72], off offset:1536
	global_load_dwordx2 v[80:81], v[80:81], off offset:96
	;; [unrolled: 1-line block ×8, first 2 shown]
	ds_read_b64 v[96:97], v161 offset:3584
	ds_read_b64 v[98:99], v161 offset:8288
	;; [unrolled: 1-line block ×8, first 2 shown]
	s_waitcnt vmcnt(7) lgkmcnt(7)
	v_mul_f32_e32 v185, v97, v72
	v_mul_f32_e32 v73, v96, v72
	s_waitcnt vmcnt(6) lgkmcnt(6)
	v_mul_f32_e32 v187, v99, v81
	v_mul_f32_e32 v186, v98, v81
	;; [unrolled: 3-line block ×8, first 2 shown]
	v_fma_f32 v72, v96, v71, -v185
	v_fmac_f32_e32 v73, v97, v71
	v_fma_f32 v185, v98, v80, -v187
	v_fmac_f32_e32 v186, v99, v80
	;; [unrolled: 2-line block ×8, first 2 shown]
	ds_write_b64 v161, v[72:73] offset:3584
	ds_write_b64 v161, v[185:186] offset:8288
	;; [unrolled: 1-line block ×8, first 2 shown]
.LBB0_13:
	s_or_b32 exec_lo, exec_lo, s2
	s_waitcnt lgkmcnt(0)
	s_barrier
	buffer_gl0_inv
	ds_read2_b64 v[80:83], v161 offset1:224
	ds_read2_b64 v[70:73], v70 offset0:12 offset1:236
	ds_read2_b64 v[84:87], v76 offset0:24 offset1:248
	;; [unrolled: 1-line block ×7, first 2 shown]
	s_and_saveexec_b32 s1, vcc_lo
	s_cbranch_execz .LBB0_15
; %bb.14:
	ds_read_b64 v[74:75], v161 offset:8288
	ds_read_b64 v[153:154], v161 offset:12992
	;; [unrolled: 1-line block ×8, first 2 shown]
.LBB0_15:
	s_or_b32 exec_lo, exec_lo, s1
	s_waitcnt lgkmcnt(3)
	v_sub_f32_e32 v96, v80, v96
	v_sub_f32_e32 v97, v81, v97
	s_waitcnt lgkmcnt(1)
	v_sub_f32_e32 v100, v84, v100
	v_sub_f32_e32 v101, v85, v101
	;; [unrolled: 1-line block ×4, first 2 shown]
	s_waitcnt lgkmcnt(0)
	v_sub_f32_e32 v92, v76, v92
	v_sub_f32_e32 v93, v77, v93
	v_fma_f32 v80, v80, 2.0, -v96
	v_fma_f32 v81, v81, 2.0, -v97
	;; [unrolled: 1-line block ×8, first 2 shown]
	v_sub_f32_e32 v84, v80, v84
	v_sub_f32_e32 v85, v81, v85
	v_add_f32_e32 v101, v96, v101
	v_add_f32_e32 v93, v88, v93
	v_sub_f32_e32 v76, v70, v76
	v_sub_f32_e32 v77, v71, v77
	v_fma_f32 v80, v80, 2.0, -v84
	v_fma_f32 v81, v81, 2.0, -v85
	v_sub_f32_e32 v100, v97, v100
	v_fma_f32 v96, v96, 2.0, -v101
	v_sub_f32_e32 v92, v89, v92
	v_fma_f32 v88, v88, 2.0, -v93
	v_fma_f32 v70, v70, 2.0, -v76
	;; [unrolled: 1-line block ×5, first 2 shown]
	v_fmamk_f32 v179, v88, 0xbf3504f3, v96
	v_sub_f32_e32 v177, v80, v70
	v_sub_f32_e32 v178, v81, v71
	;; [unrolled: 1-line block ×6, first 2 shown]
	v_fmamk_f32 v180, v89, 0xbf3504f3, v97
	v_fmac_f32_e32 v179, 0x3f3504f3, v89
	v_fma_f32 v181, v80, 2.0, -v177
	v_add_f32_e32 v185, v84, v77
	v_fma_f32 v77, v82, 2.0, -v70
	v_sub_f32_e32 v80, v87, v103
	v_fma_f32 v82, v83, 2.0, -v71
	v_fma_f32 v83, v86, 2.0, -v76
	v_sub_f32_e32 v86, v73, v91
	v_sub_f32_e32 v89, v79, v95
	v_fmac_f32_e32 v180, 0xbf3504f3, v88
	v_fma_f32 v182, v81, 2.0, -v178
	v_sub_f32_e32 v81, v72, v90
	v_fma_f32 v87, v87, 2.0, -v80
	v_sub_f32_e32 v88, v78, v94
	v_fma_f32 v73, v73, 2.0, -v86
	v_fma_f32 v79, v79, 2.0, -v89
	;; [unrolled: 1-line block ×3, first 2 shown]
	v_sub_f32_e32 v102, v82, v87
	v_fma_f32 v78, v78, 2.0, -v88
	v_add_f32_e32 v80, v70, v80
	v_sub_f32_e32 v103, v71, v76
	v_add_f32_e32 v76, v81, v89
	v_sub_f32_e32 v79, v73, v79
	v_fmamk_f32 v188, v92, 0x3f3504f3, v100
	v_sub_f32_e32 v83, v77, v83
	v_fma_f32 v82, v82, 2.0, -v102
	v_fma_f32 v70, v70, 2.0, -v80
	v_sub_f32_e32 v78, v72, v78
	v_sub_f32_e32 v189, v86, v88
	v_fma_f32 v81, v81, 2.0, -v76
	v_fma_f32 v73, v73, 2.0, -v79
	;; [unrolled: 1-line block ×3, first 2 shown]
	v_fmamk_f32 v187, v93, 0x3f3504f3, v101
	v_fmac_f32_e32 v188, 0xbf3504f3, v93
	v_fma_f32 v77, v77, 2.0, -v83
	v_fma_f32 v71, v71, 2.0, -v103
	;; [unrolled: 1-line block ×4, first 2 shown]
	v_fmamk_f32 v90, v81, 0xbf3504f3, v70
	v_sub_f32_e32 v89, v82, v73
	v_fmamk_f32 v98, v76, 0x3f3504f3, v80
	v_add_f32_e32 v96, v83, v79
	v_fma_f32 v184, v97, 2.0, -v180
	v_fmac_f32_e32 v187, 0x3f3504f3, v92
	v_sub_f32_e32 v88, v77, v72
	v_fmamk_f32 v91, v87, 0xbf3504f3, v71
	v_fmac_f32_e32 v90, 0x3f3504f3, v87
	v_fma_f32 v87, v100, 2.0, -v188
	v_fma_f32 v93, v82, 2.0, -v89
	v_sub_f32_e32 v97, v102, v78
	v_fmac_f32_e32 v98, 0x3f3504f3, v189
	v_fma_f32 v100, v83, 2.0, -v96
	v_sub_f32_e32 v68, v157, v68
	v_sub_f32_e32 v72, v154, v152
	;; [unrolled: 1-line block ×5, first 2 shown]
	v_fma_f32 v86, v101, 2.0, -v187
	v_fmac_f32_e32 v91, 0xbf3504f3, v81
	v_fma_f32 v94, v70, 2.0, -v90
	v_fmamk_f32 v99, v189, 0x3f3504f3, v103
	v_fma_f32 v101, v102, 2.0, -v97
	v_fma_f32 v102, v80, 2.0, -v98
	v_sub_f32_e32 v69, v158, v69
	v_sub_f32_e32 v70, v153, v151
	;; [unrolled: 1-line block ×3, first 2 shown]
	v_fma_f32 v74, v74, 2.0, -v73
	v_fma_f32 v104, v155, 2.0, -v83
	v_add_f32_e32 v80, v72, v68
	v_add_f32_e32 v107, v82, v73
	v_fma_f32 v92, v77, 2.0, -v88
	v_fma_f32 v95, v71, 2.0, -v91
	v_fmac_f32_e32 v99, 0xbf3504f3, v76
	v_fma_f32 v71, v157, 2.0, -v68
	v_fma_f32 v79, v158, 2.0, -v69
	;; [unrolled: 1-line block ×6, first 2 shown]
	v_sub_f32_e32 v81, v69, v70
	v_fma_f32 v82, v68, 2.0, -v80
	v_sub_f32_e32 v104, v74, v104
	v_sub_f32_e32 v151, v106, v83
	v_fma_f32 v73, v73, 2.0, -v107
	v_sub_f32_e32 v76, v71, v76
	v_sub_f32_e32 v77, v79, v77
	;; [unrolled: 1-line block ×3, first 2 shown]
	v_fma_f32 v83, v69, 2.0, -v81
	v_fma_f32 v68, v74, 2.0, -v104
	;; [unrolled: 1-line block ×3, first 2 shown]
	v_fmamk_f32 v70, v73, 0xbf3504f3, v82
	v_fma_f32 v78, v71, 2.0, -v76
	v_fma_f32 v79, v79, 2.0, -v77
	;; [unrolled: 1-line block ×3, first 2 shown]
	v_fmamk_f32 v71, v74, 0xbf3504f3, v83
	v_fmac_f32_e32 v70, 0x3f3504f3, v74
	v_fmamk_f32 v74, v107, 0x3f3504f3, v80
	v_fmamk_f32 v75, v151, 0x3f3504f3, v81
	v_sub_f32_e32 v68, v78, v68
	v_sub_f32_e32 v69, v79, v69
	v_fmac_f32_e32 v71, 0xbf3504f3, v73
	v_add_f32_e32 v72, v72, v76
	v_sub_f32_e32 v73, v77, v104
	v_fmac_f32_e32 v74, 0x3f3504f3, v151
	v_fmac_f32_e32 v75, 0xbf3504f3, v107
	v_fma_f32 v84, v84, 2.0, -v185
	v_fma_f32 v85, v85, 2.0, -v186
	;; [unrolled: 1-line block ×3, first 2 shown]
	s_barrier
	buffer_gl0_inv
	ds_write_b128 v166, v[181:184]
	ds_write_b128 v166, v[84:87] offset:16
	ds_write_b128 v166, v[177:180] offset:32
	;; [unrolled: 1-line block ×3, first 2 shown]
	ds_write_b128 v167, v[92:95]
	ds_write_b128 v167, v[100:103] offset:16
	ds_write_b128 v167, v[88:91] offset:32
	;; [unrolled: 1-line block ×3, first 2 shown]
	s_and_saveexec_b32 s1, vcc_lo
	s_cbranch_execz .LBB0_17
; %bb.16:
	v_fma_f32 v86, v81, 2.0, -v75
	v_fma_f32 v85, v80, 2.0, -v74
	;; [unrolled: 1-line block ×8, first 2 shown]
	ds_write_b128 v165, v[78:81]
	ds_write_b128 v165, v[83:86] offset:16
	ds_write_b128 v165, v[68:71] offset:32
	;; [unrolled: 1-line block ×3, first 2 shown]
.LBB0_17:
	s_or_b32 exec_lo, exec_lo, s1
	v_add_nc_u32_e32 v76, 0x2400, v161
	v_add_nc_u32_e32 v77, 0x4900, v161
	s_waitcnt lgkmcnt(0)
	s_barrier
	buffer_gl0_inv
	ds_read2_b64 v[80:83], v161 offset1:224
	ds_read2_b64 v[100:103], v76 offset0:24 offset1:248
	ds_read2_b64 v[96:99], v77 offset0:16 offset1:240
	v_add_nc_u32_e32 v76, 0x6e00, v161
	v_add_nc_u32_e32 v77, 0xe00, v161
	;; [unrolled: 1-line block ×5, first 2 shown]
	ds_read2_b64 v[104:107], v76 offset0:8 offset1:232
	ds_read2_b64 v[76:79], v77 offset1:224
	ds_read2_b64 v[92:95], v84 offset0:24 offset1:248
	ds_read2_b64 v[88:91], v85 offset0:16 offset1:240
	;; [unrolled: 1-line block ×3, first 2 shown]
	ds_read_b64 v[157:158], v161 offset:16576
	ds_read_b64 v[155:156], v161 offset:25984
	;; [unrolled: 1-line block ×4, first 2 shown]
	s_and_saveexec_b32 s1, s0
	s_cbranch_execz .LBB0_19
; %bb.18:
	ds_read_b64 v[70:71], v161 offset:18368
	ds_read_b64 v[72:73], v161 offset:27776
	;; [unrolled: 1-line block ×4, first 2 shown]
.LBB0_19:
	s_or_b32 exec_lo, exec_lo, s1
	s_waitcnt lgkmcnt(10)
	v_mul_f32_e32 v165, v1, v101
	v_mul_f32_e32 v166, v1, v100
	s_waitcnt lgkmcnt(9)
	v_mul_f32_e32 v167, v3, v97
	v_mul_f32_e32 v177, v1, v103
	;; [unrolled: 1-line block ×3, first 2 shown]
	v_fmac_f32_e32 v165, v0, v100
	v_fma_f32 v100, v0, v101, -v166
	v_fmac_f32_e32 v167, v2, v96
	v_mul_f32_e32 v96, v3, v96
	s_waitcnt lgkmcnt(8)
	v_mul_f32_e32 v101, v150, v105
	v_mul_f32_e32 v166, v150, v104
	v_fmac_f32_e32 v177, v0, v102
	v_fma_f32 v102, v0, v103, -v178
	v_fma_f32 v96, v2, v97, -v96
	v_fmac_f32_e32 v101, v149, v104
	v_fma_f32 v97, v149, v105, -v166
	v_mul_f32_e32 v103, v3, v99
	v_mul_f32_e32 v104, v3, v98
	;; [unrolled: 1-line block ×4, first 2 shown]
	s_waitcnt lgkmcnt(6)
	v_mul_f32_e32 v178, v1, v93
	v_fmac_f32_e32 v103, v2, v98
	v_fma_f32 v98, v2, v99, -v104
	v_fmac_f32_e32 v105, v149, v106
	v_fma_f32 v99, v149, v107, -v166
	v_fmac_f32_e32 v178, v0, v92
	v_mul_f32_e32 v92, v1, v92
	s_waitcnt lgkmcnt(5)
	v_mul_f32_e32 v106, v3, v88
	s_waitcnt lgkmcnt(4)
	v_mul_f32_e32 v166, v150, v84
	v_mul_f32_e32 v107, v150, v85
	;; [unrolled: 1-line block ×3, first 2 shown]
	v_fma_f32 v179, v0, v93, -v92
	v_fma_f32 v93, v2, v89, -v106
	;; [unrolled: 1-line block ×3, first 2 shown]
	v_mul_f32_e32 v85, v3, v90
	v_fmac_f32_e32 v107, v149, v84
	v_mul_f32_e32 v84, v1, v94
	v_mul_f32_e32 v181, v150, v87
	s_waitcnt lgkmcnt(3)
	v_mul_f32_e32 v184, v1, v158
	v_fma_f32 v183, v2, v91, -v85
	v_mul_f32_e32 v85, v1, v157
	v_fmac_f32_e32 v104, v2, v88
	v_mul_f32_e32 v166, v1, v95
	v_fma_f32 v182, v0, v95, -v84
	v_fmac_f32_e32 v181, v149, v86
	v_mul_f32_e32 v84, v150, v86
	s_waitcnt lgkmcnt(2)
	v_mul_f32_e32 v185, v3, v156
	v_mul_f32_e32 v86, v3, v155
	v_fmac_f32_e32 v184, v0, v157
	v_fma_f32 v157, v0, v158, -v85
	v_sub_f32_e32 v88, v80, v167
	v_sub_f32_e32 v85, v165, v101
	v_mul_f32_e32 v180, v3, v91
	v_fmac_f32_e32 v166, v0, v94
	v_fma_f32 v186, v149, v87, -v84
	v_fmac_f32_e32 v185, v2, v155
	v_fma_f32 v155, v2, v156, -v86
	v_sub_f32_e32 v89, v81, v96
	v_fma_f32 v86, v80, 2.0, -v88
	v_sub_f32_e32 v87, v100, v97
	v_fma_f32 v80, v165, 2.0, -v85
	v_sub_f32_e32 v94, v82, v103
	v_sub_f32_e32 v95, v83, v98
	;; [unrolled: 1-line block ×4, first 2 shown]
	v_fmac_f32_e32 v180, v2, v90
	s_waitcnt lgkmcnt(0)
	v_mul_f32_e32 v156, v150, v154
	v_mul_f32_e32 v84, v150, v153
	v_fma_f32 v90, v81, 2.0, -v89
	v_fma_f32 v81, v100, 2.0, -v87
	v_sub_f32_e32 v80, v86, v80
	v_fma_f32 v91, v82, 2.0, -v94
	v_fma_f32 v97, v83, 2.0, -v95
	;; [unrolled: 1-line block ×4, first 2 shown]
	v_fmac_f32_e32 v156, v149, v153
	v_fma_f32 v153, v149, v154, -v84
	v_sub_f32_e32 v81, v90, v81
	v_fma_f32 v82, v86, 2.0, -v80
	v_add_f32_e32 v84, v88, v87
	v_sub_f32_e32 v86, v91, v83
	v_sub_f32_e32 v87, v97, v98
	v_fma_f32 v83, v90, 2.0, -v81
	v_sub_f32_e32 v100, v76, v104
	v_sub_f32_e32 v101, v77, v93
	v_fma_f32 v90, v91, 2.0, -v86
	v_fma_f32 v91, v97, 2.0, -v87
	v_sub_f32_e32 v97, v178, v107
	v_sub_f32_e32 v98, v179, v106
	;; [unrolled: 1-line block ×4, first 2 shown]
	v_add_f32_e32 v92, v94, v92
	v_fma_f32 v99, v76, 2.0, -v100
	v_fma_f32 v102, v178, 2.0, -v97
	v_sub_f32_e32 v93, v95, v96
	v_fma_f32 v103, v77, 2.0, -v101
	v_fma_f32 v96, v179, 2.0, -v98
	v_sub_f32_e32 v106, v78, v180
	v_sub_f32_e32 v105, v166, v181
	v_fma_f32 v154, v79, 2.0, -v107
	v_fma_f32 v79, v182, 2.0, -v104
	v_sub_f32_e32 v158, v151, v185
	v_sub_f32_e32 v165, v152, v155
	;; [unrolled: 1-line block ×4, first 2 shown]
	v_fma_f32 v76, v94, 2.0, -v92
	v_sub_f32_e32 v94, v99, v102
	v_sub_f32_e32 v85, v89, v85
	v_fma_f32 v77, v95, 2.0, -v93
	v_sub_f32_e32 v95, v103, v96
	v_fma_f32 v102, v78, 2.0, -v106
	v_fma_f32 v78, v166, 2.0, -v105
	v_sub_f32_e32 v79, v154, v79
	v_fma_f32 v156, v151, 2.0, -v158
	v_fma_f32 v166, v152, 2.0, -v165
	;; [unrolled: 1-line block ×5, first 2 shown]
	v_add_f32_e32 v98, v100, v98
	v_sub_f32_e32 v99, v101, v97
	v_fma_f32 v88, v88, 2.0, -v84
	v_fma_f32 v89, v89, 2.0, -v85
	v_sub_f32_e32 v78, v102, v78
	v_fma_f32 v97, v103, 2.0, -v95
	v_add_f32_e32 v104, v106, v104
	v_fma_f32 v103, v154, 2.0, -v79
	v_sub_f32_e32 v105, v107, v105
	v_sub_f32_e32 v151, v156, v151
	;; [unrolled: 1-line block ×3, first 2 shown]
	v_add_f32_e32 v153, v158, v153
	v_sub_f32_e32 v154, v165, v155
	v_fma_f32 v100, v100, 2.0, -v98
	v_fma_f32 v101, v101, 2.0, -v99
	;; [unrolled: 1-line block ×9, first 2 shown]
	s_barrier
	buffer_gl0_inv
	ds_write2_b64 v172, v[82:83], v[88:89] offset1:8
	ds_write2_b64 v172, v[80:81], v[84:85] offset0:16 offset1:24
	ds_write2_b64 v171, v[90:91], v[76:77] offset1:8
	ds_write2_b64 v171, v[86:87], v[92:93] offset0:16 offset1:24
	;; [unrolled: 2-line block ×5, first 2 shown]
	s_and_saveexec_b32 s1, s0
	s_cbranch_execz .LBB0_21
; %bb.20:
	v_mul_f32_e32 v76, v3, v72
	v_mul_f32_e32 v77, v1, v71
	;; [unrolled: 1-line block ×5, first 2 shown]
	v_fma_f32 v73, v2, v73, -v76
	v_mul_f32_e32 v76, v150, v75
	v_fmac_f32_e32 v77, v0, v70
	v_fma_f32 v0, v0, v71, -v1
	v_fma_f32 v1, v149, v75, -v78
	v_fmac_f32_e32 v3, v2, v72
	v_fmac_f32_e32 v76, v149, v74
	v_sub_f32_e32 v70, v69, v73
	v_and_or_b32 v74, 0x13e0, v164, v163
	v_sub_f32_e32 v2, v0, v1
	v_sub_f32_e32 v71, v68, v3
	;; [unrolled: 1-line block ×3, first 2 shown]
	v_fma_f32 v72, v69, 2.0, -v70
	v_fma_f32 v3, v0, 2.0, -v2
	;; [unrolled: 1-line block ×4, first 2 shown]
	v_sub_f32_e32 v1, v70, v1
	v_add_f32_e32 v0, v71, v2
	v_sub_f32_e32 v3, v72, v3
	v_sub_f32_e32 v2, v73, v68
	v_fma_f32 v69, v70, 2.0, -v1
	v_fma_f32 v68, v71, 2.0, -v0
	;; [unrolled: 1-line block ×3, first 2 shown]
	v_lshlrev_b32_e32 v72, 3, v74
	v_fma_f32 v70, v73, 2.0, -v2
	ds_write2_b64 v72, v[70:71], v[68:69] offset1:8
	ds_write2_b64 v72, v[2:3], v[0:1] offset0:16 offset1:24
.LBB0_21:
	s_or_b32 exec_lo, exec_lo, s1
	v_add_nc_u32_e32 v1, 0xe00, v161
	v_add_nc_u32_e32 v71, 0x2a00, v161
	;; [unrolled: 1-line block ×4, first 2 shown]
	s_waitcnt lgkmcnt(0)
	s_barrier
	buffer_gl0_inv
	ds_read2_b64 v[73:76], v1 offset1:224
	ds_read2_b64 v[77:80], v71 offset1:224
	;; [unrolled: 1-line block ×4, first 2 shown]
	v_add_nc_u32_e32 v72, 0x6200, v161
	v_add_nc_u32_e32 v2, 0x7e00, v161
	ds_read2_b64 v[89:92], v0 offset1:224
	v_add_nc_u32_e32 v3, 0x1c00, v161
	v_add_nc_u32_e32 v69, 0x4600, v161
	;; [unrolled: 1-line block ×3, first 2 shown]
	ds_read2_b64 v[93:96], v72 offset1:224
	ds_read_b64 v[105:106], v161 offset:35840
	ds_read2_b64 v[97:100], v2 offset1:224
	ds_read2_b64 v[101:104], v3 offset1:224
	;; [unrolled: 1-line block ×4, first 2 shown]
	s_waitcnt lgkmcnt(0)
	s_barrier
	buffer_gl0_inv
	s_mov_b32 s2, 0x899406f7
	s_mov_b32 s3, 0x3f2bdd2b
	s_mul_hi_u32 s1, s8, 0x24c
	v_mul_f32_e32 v107, v13, v76
	v_mul_f32_e32 v157, v13, v75
	;; [unrolled: 1-line block ×6, first 2 shown]
	v_fmac_f32_e32 v107, v12, v75
	v_fma_f32 v75, v12, v76, -v157
	v_fmac_f32_e32 v158, v14, v77
	v_fma_f32 v76, v14, v78, -v163
	;; [unrolled: 2-line block ×3, first 2 shown]
	v_mul_f32_e32 v78, v11, v90
	v_mul_f32_e32 v83, v11, v89
	;; [unrolled: 1-line block ×5, first 2 shown]
	v_fmac_f32_e32 v78, v10, v89
	v_fma_f32 v83, v10, v90, -v83
	v_fmac_f32_e32 v84, v4, v95
	v_fma_f32 v89, v4, v96, -v157
	v_fmac_f32_e32 v163, v6, v97
	v_mul_f32_e32 v90, v7, v97
	v_mul_f32_e32 v95, v13, v102
	;; [unrolled: 1-line block ×5, first 2 shown]
	v_fma_f32 v90, v6, v98, -v90
	v_fmac_f32_e32 v95, v12, v101
	v_fma_f32 v96, v12, v102, -v96
	v_fmac_f32_e32 v97, v14, v79
	v_fma_f32 v79, v14, v80, -v157
	v_mul_f32_e32 v80, v9, v150
	v_mul_f32_e32 v98, v9, v149
	;; [unrolled: 1-line block ×5, first 2 shown]
	v_fmac_f32_e32 v80, v8, v149
	v_fma_f32 v98, v8, v150, -v98
	v_fmac_f32_e32 v101, v10, v91
	v_fma_f32 v91, v10, v92, -v102
	v_mul_f32_e32 v102, v7, v100
	v_mul_f32_e32 v149, v7, v99
	;; [unrolled: 1-line block ×5, first 2 shown]
	v_fmac_f32_e32 v102, v6, v99
	v_fma_f32 v99, v6, v100, -v149
	v_mul_f32_e32 v149, v11, v94
	v_fma_f32 v100, v12, v104, -v13
	v_mul_f32_e32 v104, v9, v152
	v_mul_f32_e32 v9, v9, v151
	v_fmac_f32_e32 v157, v4, v153
	v_fmac_f32_e32 v149, v10, v93
	v_fma_f32 v92, v4, v154, -v92
	v_fmac_f32_e32 v104, v8, v151
	v_fma_f32 v151, v8, v152, -v9
	v_mul_f32_e32 v8, v11, v93
	v_mul_f32_e32 v93, v5, v156
	;; [unrolled: 1-line block ×3, first 2 shown]
	v_fmac_f32_e32 v150, v12, v103
	v_mul_f32_e32 v103, v15, v82
	v_mul_f32_e32 v12, v15, v81
	;; [unrolled: 1-line block ×4, first 2 shown]
	v_fma_f32 v94, v10, v94, -v8
	v_fmac_f32_e32 v93, v4, v155
	v_fma_f32 v154, v4, v156, -v5
	v_add_f32_e32 v4, v107, v163
	v_add_f32_e32 v5, v75, v90
	;; [unrolled: 1-line block ×4, first 2 shown]
	v_fmac_f32_e32 v103, v14, v81
	v_fma_f32 v153, v14, v82, -v12
	v_fmac_f32_e32 v152, v6, v105
	v_fma_f32 v105, v6, v106, -v7
	v_sub_f32_e32 v6, v107, v163
	v_sub_f32_e32 v7, v75, v90
	;; [unrolled: 1-line block ×4, first 2 shown]
	v_add_f32_e32 v12, v164, v78
	v_add_f32_e32 v13, v77, v83
	v_sub_f32_e32 v14, v78, v164
	v_sub_f32_e32 v15, v83, v77
	v_add_f32_e32 v75, v8, v4
	v_add_f32_e32 v76, v9, v5
	v_sub_f32_e32 v77, v8, v4
	v_sub_f32_e32 v78, v9, v5
	;; [unrolled: 1-line block ×6, first 2 shown]
	v_add_f32_e32 v4, v14, v10
	v_add_f32_e32 v5, v15, v11
	v_sub_f32_e32 v83, v14, v10
	v_sub_f32_e32 v84, v15, v11
	;; [unrolled: 1-line block ×3, first 2 shown]
	v_add_f32_e32 v12, v12, v75
	v_add_f32_e32 v13, v13, v76
	v_sub_f32_e32 v11, v11, v7
	v_sub_f32_e32 v14, v6, v14
	;; [unrolled: 1-line block ×3, first 2 shown]
	v_add_f32_e32 v6, v4, v6
	v_add_f32_e32 v7, v5, v7
	;; [unrolled: 1-line block ×4, first 2 shown]
	v_mul_f32_e32 v75, 0x3f4a47b2, v81
	v_mul_f32_e32 v76, 0x3f4a47b2, v82
	;; [unrolled: 1-line block ×8, first 2 shown]
	v_fmamk_f32 v12, v12, 0xbf955555, v4
	v_fmamk_f32 v13, v13, 0xbf955555, v5
	;; [unrolled: 1-line block ×4, first 2 shown]
	v_fma_f32 v81, 0x3f3bfb3b, v77, -v81
	v_fma_f32 v82, 0x3f3bfb3b, v78, -v82
	;; [unrolled: 1-line block ×4, first 2 shown]
	v_fmamk_f32 v77, v14, 0xbeae86e6, v83
	v_fmamk_f32 v78, v15, 0xbeae86e6, v84
	v_fma_f32 v83, 0xbf5ff5aa, v10, -v83
	v_fma_f32 v84, 0xbf5ff5aa, v11, -v84
	;; [unrolled: 1-line block ×4, first 2 shown]
	v_add_f32_e32 v86, v8, v12
	v_add_f32_e32 v89, v9, v13
	;; [unrolled: 1-line block ×6, first 2 shown]
	v_fmac_f32_e32 v77, 0xbee1c552, v6
	v_fmac_f32_e32 v78, 0xbee1c552, v7
	;; [unrolled: 1-line block ×6, first 2 shown]
	v_add_f32_e32 v6, v78, v86
	v_sub_f32_e32 v7, v89, v77
	v_add_f32_e32 v8, v14, v75
	v_sub_f32_e32 v9, v76, v85
	v_sub_f32_e32 v10, v15, v84
	v_add_f32_e32 v11, v83, v81
	v_add_f32_e32 v12, v84, v15
	v_sub_f32_e32 v13, v81, v83
	v_sub_f32_e32 v14, v75, v14
	v_add_f32_e32 v15, v85, v76
	v_sub_f32_e32 v75, v86, v78
	v_add_f32_e32 v76, v77, v89
	v_add_f32_e32 v77, v95, v102
	;; [unrolled: 1-line block ×5, first 2 shown]
	v_sub_f32_e32 v81, v95, v102
	v_sub_f32_e32 v85, v97, v157
	;; [unrolled: 1-line block ×3, first 2 shown]
	v_add_f32_e32 v86, v80, v101
	v_add_f32_e32 v89, v98, v91
	v_sub_f32_e32 v80, v101, v80
	v_sub_f32_e32 v90, v91, v98
	v_add_f32_e32 v91, v83, v77
	v_add_f32_e32 v92, v84, v78
	v_sub_f32_e32 v82, v96, v99
	v_sub_f32_e32 v95, v83, v77
	;; [unrolled: 1-line block ×7, first 2 shown]
	v_add_f32_e32 v77, v80, v85
	v_add_f32_e32 v78, v90, v79
	v_sub_f32_e32 v99, v80, v85
	v_sub_f32_e32 v101, v90, v79
	v_sub_f32_e32 v85, v85, v81
	v_add_f32_e32 v86, v86, v91
	v_add_f32_e32 v89, v89, v92
	v_sub_f32_e32 v80, v81, v80
	v_sub_f32_e32 v90, v82, v90
	;; [unrolled: 1-line block ×3, first 2 shown]
	v_add_f32_e32 v81, v77, v81
	v_add_f32_e32 v82, v78, v82
	;; [unrolled: 1-line block ×4, first 2 shown]
	v_mul_f32_e32 v87, 0x3f4a47b2, v97
	v_mul_f32_e32 v88, 0x3f4a47b2, v98
	;; [unrolled: 1-line block ×8, first 2 shown]
	v_fmamk_f32 v86, v86, 0xbf955555, v77
	v_fmamk_f32 v89, v89, 0xbf955555, v78
	;; [unrolled: 1-line block ×4, first 2 shown]
	v_fma_f32 v91, 0x3f3bfb3b, v95, -v91
	v_fma_f32 v92, 0x3f3bfb3b, v96, -v92
	;; [unrolled: 1-line block ×4, first 2 shown]
	v_fmamk_f32 v95, v80, 0xbeae86e6, v97
	v_fmamk_f32 v96, v90, 0xbeae86e6, v98
	v_fma_f32 v97, 0xbf5ff5aa, v85, -v97
	v_fma_f32 v85, 0xbf5ff5aa, v79, -v98
	;; [unrolled: 1-line block ×4, first 2 shown]
	v_add_f32_e32 v91, v91, v86
	v_add_f32_e32 v92, v92, v89
	;; [unrolled: 1-line block ×3, first 2 shown]
	v_fmac_f32_e32 v97, 0xbee1c552, v81
	v_fmac_f32_e32 v98, 0xbee1c552, v81
	v_fmac_f32_e32 v85, 0xbee1c552, v82
	v_add_f32_e32 v99, v83, v86
	v_add_f32_e32 v101, v84, v89
	;; [unrolled: 1-line block ×3, first 2 shown]
	v_fmac_f32_e32 v95, 0xbee1c552, v81
	v_fmac_f32_e32 v96, 0xbee1c552, v82
	;; [unrolled: 1-line block ×3, first 2 shown]
	v_sub_f32_e32 v82, v88, v98
	v_sub_f32_e32 v83, v91, v85
	v_add_f32_e32 v84, v97, v92
	v_add_f32_e32 v85, v85, v91
	v_sub_f32_e32 v86, v92, v97
	v_add_f32_e32 v88, v98, v88
	v_add_f32_e32 v91, v150, v152
	v_add_f32_e32 v92, v100, v105
	v_add_f32_e32 v97, v103, v93
	v_add_f32_e32 v98, v153, v154
	v_add_f32_e32 v79, v96, v99
	v_sub_f32_e32 v80, v101, v95
	v_add_f32_e32 v81, v90, v87
	v_sub_f32_e32 v87, v87, v90
	v_sub_f32_e32 v89, v99, v96
	v_add_f32_e32 v90, v95, v101
	v_sub_f32_e32 v95, v150, v152
	v_sub_f32_e32 v96, v100, v105
	;; [unrolled: 1-line block ×4, first 2 shown]
	v_add_f32_e32 v100, v104, v149
	v_add_f32_e32 v101, v151, v94
	v_sub_f32_e32 v102, v149, v104
	v_sub_f32_e32 v94, v94, v151
	v_add_f32_e32 v103, v97, v91
	v_add_f32_e32 v104, v98, v92
	v_sub_f32_e32 v105, v97, v91
	v_sub_f32_e32 v106, v98, v92
	;; [unrolled: 1-line block ×6, first 2 shown]
	v_add_f32_e32 v107, v102, v93
	v_add_f32_e32 v149, v94, v99
	v_sub_f32_e32 v150, v102, v93
	v_sub_f32_e32 v151, v94, v99
	;; [unrolled: 1-line block ×3, first 2 shown]
	v_add_f32_e32 v100, v100, v103
	v_add_f32_e32 v101, v101, v104
	v_sub_f32_e32 v99, v99, v96
	v_sub_f32_e32 v102, v95, v102
	;; [unrolled: 1-line block ×3, first 2 shown]
	v_add_f32_e32 v95, v107, v95
	v_add_f32_e32 v96, v149, v96
	v_add_f32_e32 v73, v73, v100
	v_add_f32_e32 v74, v74, v101
	v_mul_f32_e32 v91, 0x3f4a47b2, v91
	v_mul_f32_e32 v92, 0x3f4a47b2, v92
	;; [unrolled: 1-line block ×8, first 2 shown]
	v_fmamk_f32 v100, v100, 0xbf955555, v73
	v_fmamk_f32 v101, v101, 0xbf955555, v74
	;; [unrolled: 1-line block ×4, first 2 shown]
	v_fma_f32 v103, 0x3f3bfb3b, v105, -v103
	v_fma_f32 v104, 0x3f3bfb3b, v106, -v104
	;; [unrolled: 1-line block ×4, first 2 shown]
	v_fmamk_f32 v105, v102, 0xbeae86e6, v107
	v_fmamk_f32 v106, v94, 0xbeae86e6, v149
	v_fma_f32 v107, 0xbf5ff5aa, v93, -v107
	v_fma_f32 v99, 0xbf5ff5aa, v99, -v149
	;; [unrolled: 1-line block ×4, first 2 shown]
	v_add_f32_e32 v150, v97, v100
	v_add_f32_e32 v151, v98, v101
	;; [unrolled: 1-line block ×6, first 2 shown]
	v_fmac_f32_e32 v105, 0xbee1c552, v95
	v_fmac_f32_e32 v106, 0xbee1c552, v96
	;; [unrolled: 1-line block ×6, first 2 shown]
	v_add_f32_e32 v91, v106, v150
	v_sub_f32_e32 v92, v151, v105
	v_add_f32_e32 v93, v149, v100
	v_sub_f32_e32 v94, v101, v102
	v_sub_f32_e32 v95, v97, v99
	v_add_f32_e32 v96, v107, v98
	v_add_f32_e32 v97, v99, v97
	v_sub_f32_e32 v98, v98, v107
	v_sub_f32_e32 v99, v100, v149
	v_add_f32_e32 v100, v102, v101
	v_sub_f32_e32 v101, v150, v106
	v_add_f32_e32 v102, v105, v151
	ds_write2_b64 v175, v[4:5], v[6:7] offset1:32
	ds_write2_b64 v175, v[8:9], v[10:11] offset0:64 offset1:96
	ds_write2_b64 v175, v[12:13], v[14:15] offset0:128 offset1:160
	ds_write_b64 v175, v[75:76] offset:1536
	ds_write2_b64 v174, v[77:78], v[79:80] offset1:32
	ds_write2_b64 v174, v[81:82], v[83:84] offset0:64 offset1:96
	ds_write2_b64 v174, v[85:86], v[87:88] offset0:128 offset1:160
	ds_write_b64 v174, v[89:90] offset:1536
	;; [unrolled: 4-line block ×3, first 2 shown]
	s_waitcnt lgkmcnt(0)
	s_barrier
	buffer_gl0_inv
	ds_read2_b64 v[4:7], v1 offset1:224
	ds_read2_b64 v[8:11], v71 offset1:224
	;; [unrolled: 1-line block ×10, first 2 shown]
	ds_read_b64 v[101:102], v161 offset:35840
	s_waitcnt lgkmcnt(0)
	s_barrier
	buffer_gl0_inv
	v_mul_f32_e32 v103, v37, v7
	v_mul_f32_e32 v104, v39, v9
	;; [unrolled: 1-line block ×5, first 2 shown]
	v_fmac_f32_e32 v103, v36, v6
	v_mul_f32_e32 v6, v37, v6
	v_fmac_f32_e32 v104, v38, v8
	v_fma_f32 v8, v32, v15, -v107
	v_mul_f32_e32 v15, v29, v84
	v_fmac_f32_e32 v106, v32, v14
	v_fma_f32 v6, v36, v7, -v6
	v_fma_f32 v7, v38, v9, -v105
	v_mul_f32_e32 v9, v35, v74
	v_mul_f32_e32 v105, v29, v83
	;; [unrolled: 1-line block ×3, first 2 shown]
	v_fmac_f32_e32 v15, v28, v83
	v_mul_f32_e32 v83, v37, v90
	v_fmac_f32_e32 v9, v34, v73
	v_fma_f32 v73, v28, v84, -v105
	v_mul_f32_e32 v37, v37, v89
	v_mul_f32_e32 v84, v39, v11
	;; [unrolled: 1-line block ×3, first 2 shown]
	v_fmac_f32_e32 v83, v36, v89
	v_mul_f32_e32 v107, v31, v86
	v_fma_f32 v36, v36, v90, -v37
	v_fmac_f32_e32 v84, v38, v10
	v_fma_f32 v37, v38, v11, -v39
	v_mul_f32_e32 v38, v33, v94
	v_mul_f32_e32 v10, v33, v93
	;; [unrolled: 1-line block ×4, first 2 shown]
	v_fma_f32 v14, v34, v74, -v14
	v_mul_f32_e32 v74, v31, v85
	v_mul_f32_e32 v35, v29, v98
	v_fmac_f32_e32 v38, v32, v93
	v_fma_f32 v32, v32, v94, -v10
	v_fmac_f32_e32 v33, v34, v75
	v_fma_f32 v34, v34, v76, -v11
	v_mul_f32_e32 v10, v29, v97
	v_mul_f32_e32 v29, v31, v88
	v_mul_f32_e32 v11, v31, v87
	v_fmac_f32_e32 v107, v30, v85
	v_fma_f32 v74, v30, v86, -v74
	v_fmac_f32_e32 v35, v28, v97
	v_fma_f32 v28, v28, v98, -v10
	v_fmac_f32_e32 v29, v30, v87
	v_fma_f32 v30, v30, v88, -v11
	v_mul_f32_e32 v10, v27, v12
	v_mul_f32_e32 v11, v21, v95
	;; [unrolled: 1-line block ×5, first 2 shown]
	v_fma_f32 v87, v26, v13, -v10
	v_fma_f32 v88, v20, v96, -v11
	v_fmac_f32_e32 v86, v22, v81
	v_mul_f32_e32 v10, v23, v81
	v_mul_f32_e32 v81, v17, v100
	;; [unrolled: 1-line block ×3, first 2 shown]
	v_fmac_f32_e32 v76, v26, v12
	v_mul_f32_e32 v89, v19, v102
	v_mul_f32_e32 v12, v19, v101
	v_fma_f32 v82, v22, v82, -v10
	v_fmac_f32_e32 v81, v16, v99
	v_fma_f32 v90, v16, v100, -v11
	v_add_f32_e32 v10, v103, v107
	v_add_f32_e32 v11, v6, v74
	;; [unrolled: 1-line block ×4, first 2 shown]
	v_mul_f32_e32 v25, v25, v91
	v_fmac_f32_e32 v39, v24, v91
	v_mul_f32_e32 v85, v21, v96
	v_fmac_f32_e32 v89, v18, v101
	v_fma_f32 v91, v18, v102, -v12
	v_sub_f32_e32 v12, v103, v107
	v_sub_f32_e32 v6, v6, v74
	;; [unrolled: 1-line block ×4, first 2 shown]
	v_add_f32_e32 v17, v106, v9
	v_add_f32_e32 v18, v8, v14
	v_sub_f32_e32 v9, v9, v106
	v_sub_f32_e32 v8, v14, v8
	v_add_f32_e32 v14, v13, v10
	v_add_f32_e32 v19, v16, v11
	v_fma_f32 v75, v24, v92, -v25
	v_fmac_f32_e32 v85, v20, v95
	v_sub_f32_e32 v20, v13, v10
	v_sub_f32_e32 v21, v16, v11
	;; [unrolled: 1-line block ×6, first 2 shown]
	v_add_f32_e32 v22, v9, v15
	v_add_f32_e32 v23, v8, v7
	v_sub_f32_e32 v24, v9, v15
	v_sub_f32_e32 v25, v8, v7
	;; [unrolled: 1-line block ×3, first 2 shown]
	v_add_f32_e32 v14, v17, v14
	v_add_f32_e32 v17, v18, v19
	v_sub_f32_e32 v18, v7, v6
	v_sub_f32_e32 v9, v12, v9
	;; [unrolled: 1-line block ×3, first 2 shown]
	v_add_f32_e32 v12, v22, v12
	v_add_f32_e32 v19, v23, v6
	;; [unrolled: 1-line block ×4, first 2 shown]
	v_mul_f32_e32 v10, 0x3f4a47b2, v10
	v_mul_f32_e32 v11, 0x3f4a47b2, v11
	;; [unrolled: 1-line block ×8, first 2 shown]
	v_fmamk_f32 v14, v14, 0xbf955555, v6
	v_fmamk_f32 v17, v17, 0xbf955555, v7
	;; [unrolled: 1-line block ×4, first 2 shown]
	v_fma_f32 v22, 0x3f3bfb3b, v20, -v22
	v_fma_f32 v23, 0x3f3bfb3b, v21, -v23
	;; [unrolled: 1-line block ×4, first 2 shown]
	v_fmamk_f32 v20, v9, 0xbeae86e6, v24
	v_fmamk_f32 v21, v8, 0xbeae86e6, v25
	v_fma_f32 v15, 0xbf5ff5aa, v15, -v24
	v_fma_f32 v18, 0xbf5ff5aa, v18, -v25
	;; [unrolled: 1-line block ×4, first 2 shown]
	v_add_f32_e32 v26, v13, v14
	v_add_f32_e32 v27, v16, v17
	;; [unrolled: 1-line block ×6, first 2 shown]
	v_fmac_f32_e32 v20, 0xbee1c552, v12
	v_fmac_f32_e32 v21, 0xbee1c552, v19
	;; [unrolled: 1-line block ×6, first 2 shown]
	v_add_f32_e32 v8, v21, v26
	v_sub_f32_e32 v9, v27, v20
	v_add_f32_e32 v10, v25, v23
	v_sub_f32_e32 v11, v17, v24
	v_sub_f32_e32 v12, v16, v18
	v_add_f32_e32 v14, v18, v16
	v_sub_f32_e32 v16, v23, v25
	v_add_f32_e32 v17, v24, v17
	;; [unrolled: 2-line block ×3, first 2 shown]
	v_add_f32_e32 v20, v83, v29
	v_add_f32_e32 v21, v36, v30
	;; [unrolled: 1-line block ×5, first 2 shown]
	v_sub_f32_e32 v15, v22, v15
	v_sub_f32_e32 v22, v83, v29
	;; [unrolled: 1-line block ×5, first 2 shown]
	v_add_f32_e32 v28, v38, v33
	v_add_f32_e32 v29, v32, v34
	v_sub_f32_e32 v30, v33, v38
	v_sub_f32_e32 v31, v34, v32
	v_add_f32_e32 v32, v24, v20
	v_add_f32_e32 v33, v25, v21
	v_sub_f32_e32 v34, v24, v20
	v_sub_f32_e32 v35, v25, v21
	v_sub_f32_e32 v36, v20, v28
	v_sub_f32_e32 v37, v21, v29
	v_sub_f32_e32 v24, v28, v24
	v_sub_f32_e32 v25, v29, v25
	v_add_f32_e32 v20, v30, v26
	v_add_f32_e32 v21, v31, v27
	v_sub_f32_e32 v38, v30, v26
	v_sub_f32_e32 v73, v31, v27
	;; [unrolled: 1-line block ×3, first 2 shown]
	v_add_f32_e32 v28, v28, v32
	v_add_f32_e32 v29, v29, v33
	v_sub_f32_e32 v27, v27, v23
	v_sub_f32_e32 v30, v22, v30
	;; [unrolled: 1-line block ×3, first 2 shown]
	v_add_f32_e32 v22, v20, v22
	v_add_f32_e32 v23, v21, v23
	v_add_f32_e32 v20, v79, v28
	v_add_f32_e32 v21, v80, v29
	v_mul_f32_e32 v32, 0x3f4a47b2, v36
	v_mul_f32_e32 v33, 0x3f4a47b2, v37
	;; [unrolled: 1-line block ×8, first 2 shown]
	v_fmamk_f32 v28, v28, 0xbf955555, v20
	v_fmamk_f32 v29, v29, 0xbf955555, v21
	;; [unrolled: 1-line block ×4, first 2 shown]
	v_fma_f32 v36, 0x3f3bfb3b, v34, -v36
	v_fma_f32 v37, 0x3f3bfb3b, v35, -v37
	;; [unrolled: 1-line block ×4, first 2 shown]
	v_fmamk_f32 v34, v30, 0xbeae86e6, v38
	v_fmamk_f32 v35, v31, 0xbeae86e6, v73
	v_fma_f32 v38, 0xbf5ff5aa, v26, -v38
	v_fma_f32 v73, 0xbf5ff5aa, v27, -v73
	;; [unrolled: 1-line block ×4, first 2 shown]
	v_add_f32_e32 v77, v24, v28
	v_add_f32_e32 v78, v25, v29
	;; [unrolled: 1-line block ×6, first 2 shown]
	v_fmac_f32_e32 v34, 0xbee1c552, v22
	v_fmac_f32_e32 v35, 0xbee1c552, v23
	;; [unrolled: 1-line block ×6, first 2 shown]
	v_add_f32_e32 v22, v35, v77
	v_sub_f32_e32 v23, v78, v34
	v_add_f32_e32 v24, v30, v32
	v_sub_f32_e32 v25, v33, v74
	v_sub_f32_e32 v26, v31, v73
	v_add_f32_e32 v27, v38, v36
	v_add_f32_e32 v28, v73, v31
	v_sub_f32_e32 v29, v36, v38
	v_sub_f32_e32 v30, v32, v30
	v_add_f32_e32 v31, v74, v33
	v_sub_f32_e32 v32, v77, v35
	v_add_f32_e32 v33, v34, v78
	v_add_f32_e32 v34, v39, v89
	;; [unrolled: 1-line block ×3, first 2 shown]
	v_sub_f32_e32 v36, v39, v89
	v_add_f32_e32 v38, v76, v81
	v_add_f32_e32 v39, v87, v90
	v_sub_f32_e32 v37, v75, v91
	v_sub_f32_e32 v73, v76, v81
	;; [unrolled: 1-line block ×3, first 2 shown]
	v_add_f32_e32 v75, v85, v86
	v_add_f32_e32 v76, v88, v82
	v_sub_f32_e32 v77, v86, v85
	v_sub_f32_e32 v78, v82, v88
	v_add_f32_e32 v79, v38, v34
	v_add_f32_e32 v80, v39, v35
	v_sub_f32_e32 v81, v38, v34
	v_sub_f32_e32 v82, v39, v35
	;; [unrolled: 1-line block ×6, first 2 shown]
	v_add_f32_e32 v83, v77, v73
	v_add_f32_e32 v84, v78, v74
	v_sub_f32_e32 v85, v77, v73
	v_sub_f32_e32 v86, v78, v74
	v_add_f32_e32 v75, v75, v79
	v_add_f32_e32 v76, v76, v80
	v_sub_f32_e32 v73, v73, v36
	v_sub_f32_e32 v74, v74, v37
	;; [unrolled: 1-line block ×4, first 2 shown]
	v_add_f32_e32 v36, v83, v36
	v_add_f32_e32 v37, v84, v37
	;; [unrolled: 1-line block ×4, first 2 shown]
	v_mul_f32_e32 v34, 0x3f4a47b2, v34
	v_mul_f32_e32 v35, 0x3f4a47b2, v35
	;; [unrolled: 1-line block ×8, first 2 shown]
	v_fmamk_f32 v75, v75, 0xbf955555, v4
	v_fmamk_f32 v76, v76, 0xbf955555, v5
	;; [unrolled: 1-line block ×4, first 2 shown]
	v_fma_f32 v79, 0x3f3bfb3b, v81, -v79
	v_fma_f32 v80, 0x3f3bfb3b, v82, -v80
	;; [unrolled: 1-line block ×4, first 2 shown]
	v_fmamk_f32 v81, v77, 0xbeae86e6, v83
	v_fmamk_f32 v82, v78, 0xbeae86e6, v84
	v_fma_f32 v83, 0xbf5ff5aa, v73, -v83
	v_fma_f32 v73, 0xbf5ff5aa, v74, -v84
	;; [unrolled: 1-line block ×4, first 2 shown]
	v_add_f32_e32 v84, v38, v75
	v_add_f32_e32 v85, v39, v76
	v_fmac_f32_e32 v81, 0xbee1c552, v36
	v_fmac_f32_e32 v82, 0xbee1c552, v37
	v_add_f32_e32 v74, v79, v75
	v_add_f32_e32 v79, v80, v76
	;; [unrolled: 1-line block ×4, first 2 shown]
	v_fmac_f32_e32 v83, 0xbee1c552, v36
	v_fmac_f32_e32 v78, 0xbee1c552, v37
	;; [unrolled: 1-line block ×4, first 2 shown]
	v_add_f32_e32 v34, v82, v84
	v_sub_f32_e32 v35, v85, v81
	ds_write2_b64 v161, v[6:7], v[8:9] offset1:224
	ds_write2_b64 v1, v[10:11], v[12:13] offset1:224
	;; [unrolled: 1-line block ×5, first 2 shown]
	v_add_nc_u32_e32 v6, 0x6200, v176
	v_add_f32_e32 v36, v78, v75
	v_sub_f32_e32 v37, v76, v77
	v_sub_f32_e32 v38, v74, v73
	v_add_f32_e32 v39, v83, v79
	v_add_nc_u32_e32 v7, 0x7000, v176
	v_add_f32_e32 v73, v73, v74
	v_sub_f32_e32 v74, v79, v83
	v_sub_f32_e32 v75, v75, v78
	v_add_f32_e32 v76, v77, v76
	v_add_nc_u32_e32 v8, 0x7e00, v176
	v_sub_f32_e32 v77, v84, v82
	v_add_f32_e32 v78, v81, v85
	ds_write2_b64 v69, v[26:27], v[28:29] offset1:224
	ds_write2_b64 v0, v[30:31], v[32:33] offset1:224
	;; [unrolled: 1-line block ×5, first 2 shown]
	ds_write_b64 v176, v[77:78] offset:35840
	s_waitcnt lgkmcnt(0)
	s_barrier
	buffer_gl0_inv
	ds_read2_b64 v[4:7], v71 offset1:224
	ds_read2_b64 v[8:11], v72 offset1:224
	ds_read2_b64 v[12:15], v68 offset1:224
	ds_read2_b64 v[16:19], v161 offset1:224
	ds_read2_b64 v[20:23], v1 offset1:224
	ds_read2_b64 v[24:27], v70 offset1:224
	ds_read2_b64 v[28:31], v69 offset1:224
	ds_read2_b64 v[32:35], v3 offset1:224
	ds_read2_b64 v[36:39], v2 offset1:224
	ds_read2_b64 v[71:74], v0 offset1:224
	ds_read_b64 v[75:76], v161 offset:35840
	s_waitcnt lgkmcnt(10)
	v_mul_f32_e32 v77, v65, v7
	v_mul_f32_e32 v65, v65, v6
	s_waitcnt lgkmcnt(9)
	v_mul_f32_e32 v78, v67, v9
	v_fmac_f32_e32 v77, v64, v6
	v_mul_f32_e32 v6, v67, v8
	v_fma_f32 v7, v64, v7, -v65
	s_waitcnt lgkmcnt(8)
	v_mul_f32_e32 v64, v57, v13
	v_fmac_f32_e32 v78, v66, v8
	v_mul_f32_e32 v8, v57, v12
	v_fma_f32 v9, v66, v9, -v6
	v_mul_f32_e32 v57, v59, v11
	v_fmac_f32_e32 v64, v56, v12
	v_mul_f32_e32 v6, v59, v10
	v_fma_f32 v13, v56, v13, -v8
	v_mul_f32_e32 v56, v61, v15
	v_mul_f32_e32 v8, v61, v14
	v_fmac_f32_e32 v57, v58, v10
	v_fma_f32 v58, v58, v11, -v6
	s_waitcnt lgkmcnt(5)
	v_mul_f32_e32 v6, v63, v24
	v_fmac_f32_e32 v56, v60, v14
	v_fma_f32 v60, v60, v15, -v8
	s_waitcnt lgkmcnt(4)
	v_mul_f32_e32 v61, v49, v29
	v_mul_f32_e32 v8, v49, v28
	;; [unrolled: 1-line block ×3, first 2 shown]
	v_fma_f32 v25, v62, v25, -v6
	v_mul_f32_e32 v6, v51, v26
	v_fmac_f32_e32 v61, v48, v28
	v_fma_f32 v28, v48, v29, -v8
	v_mul_f32_e32 v8, v41, v30
	v_mul_f32_e32 v49, v51, v27
	;; [unrolled: 1-line block ×3, first 2 shown]
	v_fma_f32 v27, v50, v27, -v6
	s_waitcnt lgkmcnt(2)
	v_mul_f32_e32 v6, v43, v36
	v_fma_f32 v31, v40, v31, -v8
	s_waitcnt lgkmcnt(1)
	v_mul_f32_e32 v8, v53, v71
	v_fmac_f32_e32 v49, v50, v26
	v_mul_f32_e32 v41, v43, v37
	v_fma_f32 v37, v42, v37, -v6
	v_mul_f32_e32 v6, v55, v38
	v_fma_f32 v43, v52, v72, -v8
	v_mul_f32_e32 v50, v45, v74
	v_mul_f32_e32 v8, v45, v73
	v_fmac_f32_e32 v41, v42, v36
	v_mul_f32_e32 v42, v55, v39
	v_fma_f32 v39, v54, v39, -v6
	s_waitcnt lgkmcnt(0)
	v_mul_f32_e32 v45, v47, v76
	v_fmac_f32_e32 v50, v44, v73
	v_mul_f32_e32 v6, v47, v75
	v_fma_f32 v44, v44, v74, -v8
	v_add_f32_e32 v8, v77, v78
	v_fmac_f32_e32 v45, v46, v75
	v_add_f32_e32 v10, v16, v77
	v_fma_f32 v46, v46, v76, -v6
	v_add_f32_e32 v11, v7, v9
	v_fma_f32 v6, -0.5, v8, v16
	v_sub_f32_e32 v12, v7, v9
	v_add_f32_e32 v8, v10, v78
	v_add_f32_e32 v14, v17, v7
	v_fma_f32 v7, -0.5, v11, v17
	v_sub_f32_e32 v15, v77, v78
	v_fmamk_f32 v10, v12, 0xbf5db3d7, v6
	v_fmac_f32_e32 v6, 0x3f5db3d7, v12
	v_add_f32_e32 v12, v64, v57
	v_fmac_f32_e32 v59, v62, v24
	v_add_f32_e32 v9, v14, v9
	v_fmamk_f32 v11, v15, 0x3f5db3d7, v7
	v_add_f32_e32 v14, v18, v64
	v_fmac_f32_e32 v7, 0xbf5db3d7, v15
	v_add_f32_e32 v15, v13, v58
	v_fma_f32 v18, -0.5, v12, v18
	v_sub_f32_e32 v16, v13, v58
	v_add_f32_e32 v12, v14, v57
	v_add_f32_e32 v13, v19, v13
	v_fmac_f32_e32 v19, -0.5, v15
	v_sub_f32_e32 v17, v64, v57
	v_fmamk_f32 v14, v16, 0xbf5db3d7, v18
	v_fmac_f32_e32 v18, 0x3f5db3d7, v16
	v_add_f32_e32 v16, v56, v59
	v_add_f32_e32 v24, v20, v56
	v_fmamk_f32 v15, v17, 0x3f5db3d7, v19
	v_fmac_f32_e32 v19, 0xbf5db3d7, v17
	v_add_f32_e32 v17, v60, v25
	v_fma_f32 v16, -0.5, v16, v20
	v_sub_f32_e32 v26, v60, v25
	v_fmac_f32_e32 v48, v40, v30
	v_add_f32_e32 v20, v24, v59
	v_add_f32_e32 v29, v21, v60
	v_fma_f32 v17, -0.5, v17, v21
	v_sub_f32_e32 v30, v56, v59
	v_fmamk_f32 v24, v26, 0xbf5db3d7, v16
	v_fmac_f32_e32 v16, 0x3f5db3d7, v26
	v_add_f32_e32 v26, v61, v49
	v_add_f32_e32 v21, v29, v25
	v_fmamk_f32 v25, v30, 0x3f5db3d7, v17
	v_add_f32_e32 v29, v22, v61
	v_fmac_f32_e32 v17, 0xbf5db3d7, v30
	v_add_f32_e32 v30, v28, v27
	v_fma_f32 v22, -0.5, v26, v22
	v_sub_f32_e32 v36, v28, v27
	v_mul_f32_e32 v40, v53, v72
	v_fmac_f32_e32 v42, v54, v38
	v_add_f32_e32 v26, v29, v49
	v_add_f32_e32 v29, v23, v28
	v_fmac_f32_e32 v23, -0.5, v30
	v_sub_f32_e32 v30, v61, v49
	v_fmamk_f32 v28, v36, 0xbf5db3d7, v22
	v_fmac_f32_e32 v22, 0x3f5db3d7, v36
	v_add_f32_e32 v36, v48, v41
	v_add_f32_e32 v38, v32, v48
	v_add_f32_e32 v47, v31, v37
	v_fmac_f32_e32 v40, v52, v71
	v_add_f32_e32 v27, v29, v27
	v_fmamk_f32 v29, v30, 0x3f5db3d7, v23
	v_fmac_f32_e32 v23, 0xbf5db3d7, v30
	v_fma_f32 v30, -0.5, v36, v32
	v_sub_f32_e32 v49, v31, v37
	v_add_f32_e32 v32, v38, v41
	v_add_f32_e32 v38, v33, v31
	v_fma_f32 v31, -0.5, v47, v33
	v_sub_f32_e32 v41, v48, v41
	v_add_f32_e32 v47, v34, v40
	v_sub_f32_e32 v48, v43, v39
	v_add_f32_e32 v33, v38, v37
	v_add_f32_e32 v38, v40, v42
	v_fmamk_f32 v37, v41, 0x3f5db3d7, v31
	v_fmac_f32_e32 v31, 0xbf5db3d7, v41
	v_add_f32_e32 v41, v43, v39
	v_add_f32_e32 v43, v35, v43
	v_fma_f32 v34, -0.5, v38, v34
	v_add_f32_e32 v38, v47, v42
	v_sub_f32_e32 v42, v40, v42
	v_fmac_f32_e32 v35, -0.5, v41
	v_add_f32_e32 v39, v43, v39
	v_add_f32_e32 v43, v50, v45
	v_fmamk_f32 v36, v49, 0xbf5db3d7, v30
	v_fmac_f32_e32 v30, 0x3f5db3d7, v49
	v_fmamk_f32 v41, v42, 0x3f5db3d7, v35
	v_fmac_f32_e32 v35, 0xbf5db3d7, v42
	v_add_f32_e32 v42, v44, v46
	v_fmamk_f32 v40, v48, 0xbf5db3d7, v34
	v_fmac_f32_e32 v34, 0x3f5db3d7, v48
	v_add_f32_e32 v47, v4, v50
	v_fma_f32 v4, -0.5, v43, v4
	v_sub_f32_e32 v43, v44, v46
	v_add_f32_e32 v48, v5, v44
	v_fmac_f32_e32 v5, -0.5, v42
	v_sub_f32_e32 v49, v50, v45
	v_add_f32_e32 v13, v13, v58
	v_add_f32_e32 v42, v47, v45
	v_fmamk_f32 v44, v43, 0xbf5db3d7, v4
	v_fmac_f32_e32 v4, 0x3f5db3d7, v43
	v_add_f32_e32 v43, v48, v46
	v_fmamk_f32 v45, v49, 0x3f5db3d7, v5
	v_fmac_f32_e32 v5, 0xbf5db3d7, v49
	ds_write_b64 v161, v[10:11] offset:12544
	ds_write_b64 v161, v[6:7] offset:25088
	ds_write2_b64 v161, v[8:9], v[12:13] offset1:224
	ds_write_b64 v161, v[18:19] offset:26880
	ds_write2_b64 v68, v[14:15], v[24:25] offset1:224
	ds_write2_b64 v1, v[20:21], v[26:27] offset1:224
	;; [unrolled: 1-line block ×6, first 2 shown]
	ds_write_b64 v161, v[42:43] offset:10752
	ds_write2_b64 v0, v[40:41], v[44:45] offset1:224
	ds_write_b64 v161, v[4:5] offset:35840
	s_waitcnt lgkmcnt(0)
	s_barrier
	buffer_gl0_inv
	ds_read2_b64 v[0:3], v161 offset1:224
	v_add_nc_u32_e32 v4, 0x1200, v161
	v_add_nc_u32_e32 v16, 0x2400, v161
	v_mad_u64_u32 v[12:13], null, s10, v120, 0
	v_mad_u64_u32 v[18:19], null, s8, v162, 0
	ds_read2_b64 v[4:7], v4 offset0:12 offset1:236
	v_add_nc_u32_e32 v28, 0x8000, v161
	s_waitcnt lgkmcnt(1)
	v_mul_f32_e32 v8, v144, v1
	v_mul_f32_e32 v9, v144, v0
	v_fmac_f32_e32 v8, v143, v0
	v_fma_f32 v9, v143, v1, -v9
	s_waitcnt lgkmcnt(0)
	v_mul_f32_e32 v10, v148, v5
	v_mul_f32_e32 v11, v148, v4
	v_cvt_f64_f32_e32 v[0:1], v8
	v_cvt_f64_f32_e32 v[8:9], v9
	v_fmac_f32_e32 v10, v147, v4
	v_fma_f32 v17, v147, v5, -v11
	v_cvt_f64_f32_e32 v[14:15], v10
	v_mul_f64 v[0:1], v[0:1], s[2:3]
	v_mul_f64 v[4:5], v[8:9], s[2:3]
	ds_read2_b64 v[8:11], v16 offset0:24 offset1:248
	v_cvt_f64_f32_e32 v[16:17], v17
	v_mad_u64_u32 v[20:21], null, s11, v120, v[13:14]
	v_mov_b32_e32 v13, v20
	v_mad_u64_u32 v[19:20], null, s9, v162, v[19:20]
	v_mul_f64 v[20:21], v[14:15], s[2:3]
	s_waitcnt lgkmcnt(0)
	v_mul_f32_e32 v24, v146, v9
	v_cvt_f32_f64_e32 v0, v[0:1]
	v_cvt_f32_f64_e32 v1, v[4:5]
	v_mul_f64 v[22:23], v[16:17], s[2:3]
	v_lshlrev_b64 v[4:5], 3, v[12:13]
	v_fmac_f32_e32 v24, v145, v8
	v_mul_f32_e32 v8, v146, v8
	v_add_nc_u32_e32 v13, 0x3700, v161
	v_add_nc_u32_e32 v16, 0x4900, v161
	v_add_co_u32 v25, s0, s6, v4
	v_add_co_ci_u32_e64 v26, s0, s7, v5, s0
	v_fma_f32 v12, v145, v9, -v8
	v_cvt_f64_f32_e32 v[4:5], v24
	v_add_nc_u32_e32 v24, 0x5b00, v161
	v_lshlrev_b64 v[8:9], 3, v[18:19]
	v_cvt_f32_f64_e32 v34, v[20:21]
	v_cvt_f64_f32_e32 v[32:33], v12
	ds_read2_b64 v[12:15], v13 offset0:4 offset1:228
	ds_read2_b64 v[16:19], v16 offset0:16 offset1:240
	;; [unrolled: 1-line block ×3, first 2 shown]
	v_add_co_u32 v8, s0, v25, v8
	v_cvt_f32_f64_e32 v35, v[22:23]
	ds_read2_b64 v[20:23], v24 offset0:28 offset1:252
	v_add_nc_u32_e32 v24, 0x6e00, v161
	v_add_co_ci_u32_e64 v9, s0, v26, v9, s0
	s_mul_i32 s0, s9, 0x24c
	ds_read2_b64 v[24:27], v24 offset0:8 offset1:232
	s_add_i32 s1, s1, s0
	s_mul_i32 s0, s8, 0x24c
	s_lshl_b64 s[4:5], s[0:1], 3
	v_mul_f64 v[4:5], v[4:5], s[2:3]
	s_mul_hi_u32 s1, s8, 0xfffff0cc
	s_waitcnt lgkmcnt(4)
	v_mul_f32_e32 v36, v142, v13
	v_mul_f32_e32 v37, v142, v12
	s_waitcnt lgkmcnt(2)
	v_mul_f32_e32 v44, v132, v29
	v_mul_f32_e32 v38, v140, v17
	;; [unrolled: 1-line block ×3, first 2 shown]
	v_fmac_f32_e32 v36, v141, v12
	v_fma_f32 v37, v141, v13, -v37
	s_waitcnt lgkmcnt(1)
	v_mul_f32_e32 v40, v136, v21
	v_fmac_f32_e32 v44, v131, v28
	v_mul_f32_e32 v28, v132, v28
	v_fmac_f32_e32 v38, v139, v16
	v_fma_f32 v39, v139, v17, -v39
	v_fmac_f32_e32 v40, v135, v20
	v_mul_f32_e32 v20, v136, v20
	s_waitcnt lgkmcnt(0)
	v_mul_f32_e32 v42, v134, v25
	v_mul_f32_e32 v43, v134, v24
	v_cvt_f64_f32_e32 v[12:13], v36
	v_cvt_f64_f32_e32 v[16:17], v37
	v_fma_f32 v20, v135, v21, -v20
	v_fmac_f32_e32 v42, v133, v24
	v_fma_f32 v43, v133, v25, -v43
	v_fma_f32 v46, v131, v29, -v28
	v_mul_f64 v[32:33], v[32:33], s[2:3]
	v_cvt_f64_f32_e32 v[40:41], v40
	v_cvt_f64_f32_e32 v[36:37], v38
	;; [unrolled: 1-line block ×8, first 2 shown]
	v_add_co_u32 v28, s0, v8, s4
	v_add_co_ci_u32_e64 v29, s0, s5, v9, s0
	global_store_dwordx2 v[8:9], v[0:1], off
	global_store_dwordx2 v[28:29], v[34:35], off
	v_mul_f64 v[12:13], v[12:13], s[2:3]
	v_mul_f64 v[16:17], v[16:17], s[2:3]
	v_cvt_f32_f64_e32 v0, v[4:5]
	v_add_co_u32 v28, s0, v28, s4
	v_add_co_ci_u32_e64 v29, s0, s5, v29, s0
	v_cvt_f32_f64_e32 v1, v[32:33]
	v_mul_f64 v[32:33], v[40:41], s[2:3]
	v_mul_f32_e32 v40, v117, v3
	v_mul_f64 v[4:5], v[36:37], s[2:3]
	v_mul_f64 v[8:9], v[38:39], s[2:3]
	v_mul_f64 v[20:21], v[20:21], s[2:3]
	v_mul_f64 v[24:25], v[24:25], s[2:3]
	v_mul_f64 v[34:35], v[42:43], s[2:3]
	v_mul_f64 v[36:37], v[44:45], s[2:3]
	v_mul_f64 v[38:39], v[46:47], s[2:3]
	v_fmac_f32_e32 v40, v116, v2
	v_mul_f32_e32 v42, v117, v2
	s_sub_i32 s1, s1, s8
	v_cvt_f64_f32_e32 v[40:41], v40
	v_cvt_f32_f64_e32 v12, v[12:13]
	v_cvt_f32_f64_e32 v13, v[16:17]
	v_add_co_u32 v16, s0, v28, s4
	v_add_co_ci_u32_e64 v17, s0, s5, v29, s0
	global_store_dwordx2 v[28:29], v[0:1], off
	v_cvt_f32_f64_e32 v32, v[32:33]
	v_mul_f32_e32 v28, v122, v27
	v_cvt_f32_f64_e32 v4, v[4:5]
	v_cvt_f32_f64_e32 v5, v[8:9]
	;; [unrolled: 1-line block ×5, first 2 shown]
	v_add_co_u32 v8, s0, v16, s4
	v_cvt_f32_f64_e32 v2, v[36:37]
	v_fma_f32 v34, v116, v3, -v42
	v_mul_f32_e32 v36, v138, v7
	v_cvt_f32_f64_e32 v3, v[38:39]
	v_add_co_ci_u32_e64 v9, s0, s5, v17, s0
	v_mul_f32_e32 v37, v138, v6
	v_fmac_f32_e32 v36, v137, v6
	v_add_co_u32 v6, s0, v8, s4
	v_mul_f64 v[24:25], v[40:41], s[2:3]
	v_fma_f32 v38, v137, v7, -v37
	v_add_co_ci_u32_e64 v7, s0, s5, v9, s0
	v_add_co_u32 v40, s0, v6, s4
	v_cvt_f64_f32_e32 v[34:35], v34
	v_add_co_ci_u32_e64 v41, s0, s5, v7, s0
	v_add_co_u32 v0, s0, v40, s4
	v_cvt_f64_f32_e32 v[36:37], v36
	v_cvt_f64_f32_e32 v[38:39], v38
	v_add_co_ci_u32_e64 v1, s0, s5, v41, s0
	global_store_dwordx2 v[16:17], v[12:13], off
	global_store_dwordx2 v[8:9], v[4:5], off
	;; [unrolled: 1-line block ×5, first 2 shown]
	v_mul_f32_e32 v9, v130, v11
	v_mul_f32_e32 v21, v119, v23
	;; [unrolled: 1-line block ×5, first 2 shown]
	v_fmac_f32_e32 v9, v129, v10
	v_fmac_f32_e32 v21, v118, v22
	v_fma_f32 v11, v129, v11, -v5
	v_cvt_f32_f64_e32 v2, v[24:25]
	v_mul_f32_e32 v17, v128, v19
	v_cvt_f64_f32_e32 v[9:10], v9
	v_mul_f32_e32 v20, v128, v18
	v_fmac_f32_e32 v13, v125, v14
	v_cvt_f64_f32_e32 v[24:25], v21
	v_mul_f32_e32 v21, v119, v22
	v_cvt_f64_f32_e32 v[11:12], v11
	v_fma_f32 v15, v125, v15, -v16
	v_mul_f32_e32 v22, v122, v26
	v_mul_f32_e32 v32, v124, v31
	;; [unrolled: 1-line block ×3, first 2 shown]
	v_fmac_f32_e32 v17, v127, v18
	v_fma_f32 v19, v127, v19, -v20
	v_cvt_f64_f32_e32 v[13:14], v13
	v_fma_f32 v21, v118, v23, -v21
	v_cvt_f64_f32_e32 v[15:16], v15
	v_fmac_f32_e32 v28, v121, v26
	v_fma_f32 v23, v121, v27, -v22
	v_fmac_f32_e32 v32, v123, v30
	v_fma_f32 v33, v123, v31, -v29
	v_mul_f64 v[3:4], v[34:35], s[2:3]
	v_mul_f64 v[5:6], v[36:37], s[2:3]
	;; [unrolled: 1-line block ×3, first 2 shown]
	v_cvt_f64_f32_e32 v[17:18], v17
	v_cvt_f64_f32_e32 v[19:20], v19
	;; [unrolled: 1-line block ×7, first 2 shown]
	v_mul_f64 v[9:10], v[9:10], s[2:3]
	v_mul_f64 v[11:12], v[11:12], s[2:3]
	s_mul_i32 s0, s9, 0xfffff0cc
	s_add_i32 s1, s1, s0
	v_mul_f64 v[13:14], v[13:14], s[2:3]
	s_mul_i32 s0, s8, 0xfffff0cc
	v_mul_f64 v[15:16], v[15:16], s[2:3]
	s_lshl_b64 s[6:7], s[0:1], 3
	v_add_co_u32 v0, s0, v0, s6
	v_cvt_f32_f64_e32 v3, v[3:4]
	v_cvt_f32_f64_e32 v4, v[5:6]
	;; [unrolled: 1-line block ×3, first 2 shown]
	v_mul_f64 v[6:7], v[17:18], s[2:3]
	v_mul_f64 v[17:18], v[19:20], s[2:3]
	;; [unrolled: 1-line block ×6, first 2 shown]
	v_add_co_ci_u32_e64 v1, s0, s7, v1, s0
	v_mul_f64 v[27:28], v[30:31], s[2:3]
	v_mul_f64 v[29:30], v[32:33], s[2:3]
	v_add_co_u32 v31, s0, v0, s4
	v_add_co_ci_u32_e64 v32, s0, s5, v1, s0
	v_cvt_f32_f64_e32 v8, v[9:10]
	v_add_co_u32 v10, s0, v31, s4
	v_cvt_f32_f64_e32 v9, v[11:12]
	v_add_co_ci_u32_e64 v11, s0, s5, v32, s0
	v_cvt_f32_f64_e32 v12, v[13:14]
	v_add_co_u32 v14, s0, v10, s4
	v_cvt_f32_f64_e32 v13, v[15:16]
	v_add_co_ci_u32_e64 v15, s0, s5, v11, s0
	v_cvt_f32_f64_e32 v6, v[6:7]
	v_cvt_f32_f64_e32 v7, v[17:18]
	v_cvt_f32_f64_e32 v17, v[21:22]
	v_add_co_u32 v22, s0, v14, s4
	v_cvt_f32_f64_e32 v16, v[19:20]
	v_cvt_f32_f64_e32 v18, v[23:24]
	v_add_co_ci_u32_e64 v23, s0, s5, v15, s0
	v_cvt_f32_f64_e32 v19, v[25:26]
	v_cvt_f32_f64_e32 v20, v[27:28]
	;; [unrolled: 1-line block ×3, first 2 shown]
	global_store_dwordx2 v[0:1], v[2:3], off
	v_add_co_u32 v2, s0, v22, s4
	v_add_co_ci_u32_e64 v3, s0, s5, v23, s0
	global_store_dwordx2 v[31:32], v[4:5], off
	v_add_co_u32 v4, s0, v2, s4
	v_add_co_ci_u32_e64 v5, s0, s5, v3, s0
	;; [unrolled: 3-line block ×3, first 2 shown]
	global_store_dwordx2 v[14:15], v[12:13], off
	global_store_dwordx2 v[22:23], v[6:7], off
	;; [unrolled: 1-line block ×5, first 2 shown]
	s_and_b32 exec_lo, exec_lo, vcc_lo
	s_cbranch_execz .LBB0_23
; %bb.22:
	v_add_co_u32 v2, vcc_lo, 0x800, v159
	v_add_co_ci_u32_e32 v3, vcc_lo, 0, v160, vcc_lo
	v_add_co_u32 v0, vcc_lo, v0, s6
	v_add_co_ci_u32_e32 v1, vcc_lo, s7, v1, vcc_lo
	global_load_dwordx2 v[2:3], v[2:3], off offset:1536
	ds_read_b64 v[4:5], v161 offset:3584
	ds_read_b64 v[6:7], v161 offset:8288
	ds_read_b64 v[8:9], v161 offset:12992
	ds_read_b64 v[10:11], v161 offset:36512
	s_waitcnt vmcnt(0) lgkmcnt(3)
	v_mul_f32_e32 v12, v5, v3
	v_mul_f32_e32 v3, v4, v3
	v_fmac_f32_e32 v12, v4, v2
	v_fma_f32 v4, v2, v5, -v3
	v_cvt_f64_f32_e32 v[2:3], v12
	v_cvt_f64_f32_e32 v[4:5], v4
	v_mul_f64 v[2:3], v[2:3], s[2:3]
	v_mul_f64 v[4:5], v[4:5], s[2:3]
	v_cvt_f32_f64_e32 v2, v[2:3]
	v_cvt_f32_f64_e32 v3, v[4:5]
	global_store_dwordx2 v[0:1], v[2:3], off
	global_load_dwordx2 v[2:3], v[112:113], off offset:96
	v_add_co_u32 v0, vcc_lo, v0, s4
	v_add_co_ci_u32_e32 v1, vcc_lo, s5, v1, vcc_lo
	s_waitcnt vmcnt(0) lgkmcnt(2)
	v_mul_f32_e32 v4, v7, v3
	v_mul_f32_e32 v3, v6, v3
	v_fmac_f32_e32 v4, v6, v2
	v_fma_f32 v5, v2, v7, -v3
	v_cvt_f64_f32_e32 v[2:3], v4
	v_cvt_f64_f32_e32 v[4:5], v5
	v_mul_f64 v[2:3], v[2:3], s[2:3]
	v_mul_f64 v[4:5], v[4:5], s[2:3]
	v_cvt_f32_f64_e32 v2, v[2:3]
	v_cvt_f32_f64_e32 v3, v[4:5]
	global_store_dwordx2 v[0:1], v[2:3], off
	global_load_dwordx2 v[2:3], v[110:111], off offset:704
	v_add_co_u32 v0, vcc_lo, v0, s4
	v_add_co_ci_u32_e32 v1, vcc_lo, s5, v1, vcc_lo
	s_waitcnt vmcnt(0) lgkmcnt(1)
	v_mul_f32_e32 v4, v9, v3
	v_mul_f32_e32 v3, v8, v3
	v_fmac_f32_e32 v4, v8, v2
	v_fma_f32 v5, v2, v9, -v3
	v_cvt_f64_f32_e32 v[2:3], v4
	v_cvt_f64_f32_e32 v[4:5], v5
	v_mul_f64 v[2:3], v[2:3], s[2:3]
	v_mul_f64 v[4:5], v[4:5], s[2:3]
	v_cvt_f32_f64_e32 v2, v[2:3]
	v_cvt_f32_f64_e32 v3, v[4:5]
	v_add_co_u32 v4, vcc_lo, 0x4000, v159
	v_add_co_ci_u32_e32 v5, vcc_lo, 0, v160, vcc_lo
	global_store_dwordx2 v[0:1], v[2:3], off
	global_load_dwordx2 v[2:3], v[4:5], off offset:1312
	ds_read_b64 v[4:5], v161 offset:17696
	ds_read_b64 v[6:7], v161 offset:22400
	;; [unrolled: 1-line block ×4, first 2 shown]
	v_add_co_u32 v0, vcc_lo, v0, s4
	v_add_co_ci_u32_e32 v1, vcc_lo, s5, v1, vcc_lo
	s_waitcnt vmcnt(0) lgkmcnt(3)
	v_mul_f32_e32 v14, v5, v3
	v_mul_f32_e32 v3, v4, v3
	v_fmac_f32_e32 v14, v4, v2
	v_fma_f32 v4, v2, v5, -v3
	v_cvt_f64_f32_e32 v[2:3], v14
	v_cvt_f64_f32_e32 v[4:5], v4
	v_mul_f64 v[2:3], v[2:3], s[2:3]
	v_mul_f64 v[4:5], v[4:5], s[2:3]
	v_cvt_f32_f64_e32 v2, v[2:3]
	v_cvt_f32_f64_e32 v3, v[4:5]
	global_store_dwordx2 v[0:1], v[2:3], off
	global_load_dwordx2 v[2:3], v[114:115], off offset:1920
	v_add_co_u32 v0, vcc_lo, v0, s4
	v_add_co_ci_u32_e32 v1, vcc_lo, s5, v1, vcc_lo
	s_waitcnt vmcnt(0) lgkmcnt(2)
	v_mul_f32_e32 v4, v7, v3
	v_mul_f32_e32 v3, v6, v3
	v_fmac_f32_e32 v4, v6, v2
	v_fma_f32 v5, v2, v7, -v3
	v_cvt_f64_f32_e32 v[2:3], v4
	v_cvt_f64_f32_e32 v[4:5], v5
	v_mul_f64 v[2:3], v[2:3], s[2:3]
	v_mul_f64 v[4:5], v[4:5], s[2:3]
	v_cvt_f32_f64_e32 v2, v[2:3]
	v_cvt_f32_f64_e32 v3, v[4:5]
	global_store_dwordx2 v[0:1], v[2:3], off
	global_load_dwordx2 v[2:3], v[108:109], off offset:480
	v_add_co_u32 v0, vcc_lo, v0, s4
	v_add_co_ci_u32_e32 v1, vcc_lo, s5, v1, vcc_lo
	s_waitcnt vmcnt(0) lgkmcnt(1)
	v_mul_f32_e32 v4, v9, v3
	v_mul_f32_e32 v3, v8, v3
	v_fmac_f32_e32 v4, v8, v2
	v_fma_f32 v5, v2, v9, -v3
	v_cvt_f64_f32_e32 v[2:3], v4
	v_cvt_f64_f32_e32 v[4:5], v5
	v_mul_f64 v[2:3], v[2:3], s[2:3]
	v_mul_f64 v[4:5], v[4:5], s[2:3]
	v_cvt_f32_f64_e32 v2, v[2:3]
	v_cvt_f32_f64_e32 v3, v[4:5]
	v_add_co_u32 v4, vcc_lo, 0x7800, v159
	v_add_co_ci_u32_e32 v5, vcc_lo, 0, v160, vcc_lo
	global_store_dwordx2 v[0:1], v[2:3], off
	global_load_dwordx2 v[2:3], v[4:5], off offset:1088
	v_add_co_u32 v0, vcc_lo, v0, s4
	v_add_co_ci_u32_e32 v1, vcc_lo, s5, v1, vcc_lo
	s_waitcnt vmcnt(0) lgkmcnt(0)
	v_mul_f32_e32 v4, v13, v3
	v_mul_f32_e32 v3, v12, v3
	v_fmac_f32_e32 v4, v12, v2
	v_fma_f32 v5, v2, v13, -v3
	v_cvt_f64_f32_e32 v[2:3], v4
	v_cvt_f64_f32_e32 v[4:5], v5
	v_mul_f64 v[2:3], v[2:3], s[2:3]
	v_mul_f64 v[4:5], v[4:5], s[2:3]
	v_cvt_f32_f64_e32 v2, v[2:3]
	v_cvt_f32_f64_e32 v3, v[4:5]
	v_add_co_u32 v4, vcc_lo, 0x8800, v159
	v_add_co_ci_u32_e32 v5, vcc_lo, 0, v160, vcc_lo
	global_store_dwordx2 v[0:1], v[2:3], off
	global_load_dwordx2 v[2:3], v[4:5], off offset:1696
	v_add_co_u32 v0, vcc_lo, v0, s4
	v_add_co_ci_u32_e32 v1, vcc_lo, s5, v1, vcc_lo
	s_waitcnt vmcnt(0)
	v_mul_f32_e32 v4, v11, v3
	v_mul_f32_e32 v3, v10, v3
	v_fmac_f32_e32 v4, v10, v2
	v_fma_f32 v5, v2, v11, -v3
	v_cvt_f64_f32_e32 v[2:3], v4
	v_cvt_f64_f32_e32 v[4:5], v5
	v_mul_f64 v[2:3], v[2:3], s[2:3]
	v_mul_f64 v[4:5], v[4:5], s[2:3]
	v_cvt_f32_f64_e32 v2, v[2:3]
	v_cvt_f32_f64_e32 v3, v[4:5]
	global_store_dwordx2 v[0:1], v[2:3], off
.LBB0_23:
	s_endpgm
	.section	.rodata,"a",@progbits
	.p2align	6, 0x0
	.amdhsa_kernel bluestein_single_fwd_len4704_dim1_sp_op_CI_CI
		.amdhsa_group_segment_fixed_size 37632
		.amdhsa_private_segment_fixed_size 0
		.amdhsa_kernarg_size 104
		.amdhsa_user_sgpr_count 6
		.amdhsa_user_sgpr_private_segment_buffer 1
		.amdhsa_user_sgpr_dispatch_ptr 0
		.amdhsa_user_sgpr_queue_ptr 0
		.amdhsa_user_sgpr_kernarg_segment_ptr 1
		.amdhsa_user_sgpr_dispatch_id 0
		.amdhsa_user_sgpr_flat_scratch_init 0
		.amdhsa_user_sgpr_private_segment_size 0
		.amdhsa_wavefront_size32 1
		.amdhsa_uses_dynamic_stack 0
		.amdhsa_system_sgpr_private_segment_wavefront_offset 0
		.amdhsa_system_sgpr_workgroup_id_x 1
		.amdhsa_system_sgpr_workgroup_id_y 0
		.amdhsa_system_sgpr_workgroup_id_z 0
		.amdhsa_system_sgpr_workgroup_info 0
		.amdhsa_system_vgpr_workitem_id 0
		.amdhsa_next_free_vgpr 229
		.amdhsa_next_free_sgpr 16
		.amdhsa_reserve_vcc 1
		.amdhsa_reserve_flat_scratch 0
		.amdhsa_float_round_mode_32 0
		.amdhsa_float_round_mode_16_64 0
		.amdhsa_float_denorm_mode_32 3
		.amdhsa_float_denorm_mode_16_64 3
		.amdhsa_dx10_clamp 1
		.amdhsa_ieee_mode 1
		.amdhsa_fp16_overflow 0
		.amdhsa_workgroup_processor_mode 1
		.amdhsa_memory_ordered 1
		.amdhsa_forward_progress 0
		.amdhsa_shared_vgpr_count 0
		.amdhsa_exception_fp_ieee_invalid_op 0
		.amdhsa_exception_fp_denorm_src 0
		.amdhsa_exception_fp_ieee_div_zero 0
		.amdhsa_exception_fp_ieee_overflow 0
		.amdhsa_exception_fp_ieee_underflow 0
		.amdhsa_exception_fp_ieee_inexact 0
		.amdhsa_exception_int_div_zero 0
	.end_amdhsa_kernel
	.text
.Lfunc_end0:
	.size	bluestein_single_fwd_len4704_dim1_sp_op_CI_CI, .Lfunc_end0-bluestein_single_fwd_len4704_dim1_sp_op_CI_CI
                                        ; -- End function
	.section	.AMDGPU.csdata,"",@progbits
; Kernel info:
; codeLenInByte = 22332
; NumSgprs: 18
; NumVgprs: 229
; ScratchSize: 0
; MemoryBound: 0
; FloatMode: 240
; IeeeMode: 1
; LDSByteSize: 37632 bytes/workgroup (compile time only)
; SGPRBlocks: 2
; VGPRBlocks: 28
; NumSGPRsForWavesPerEU: 18
; NumVGPRsForWavesPerEU: 229
; Occupancy: 4
; WaveLimiterHint : 1
; COMPUTE_PGM_RSRC2:SCRATCH_EN: 0
; COMPUTE_PGM_RSRC2:USER_SGPR: 6
; COMPUTE_PGM_RSRC2:TRAP_HANDLER: 0
; COMPUTE_PGM_RSRC2:TGID_X_EN: 1
; COMPUTE_PGM_RSRC2:TGID_Y_EN: 0
; COMPUTE_PGM_RSRC2:TGID_Z_EN: 0
; COMPUTE_PGM_RSRC2:TIDIG_COMP_CNT: 0
	.text
	.p2alignl 6, 3214868480
	.fill 48, 4, 3214868480
	.type	__hip_cuid_adff4279404cc81d,@object ; @__hip_cuid_adff4279404cc81d
	.section	.bss,"aw",@nobits
	.globl	__hip_cuid_adff4279404cc81d
__hip_cuid_adff4279404cc81d:
	.byte	0                               ; 0x0
	.size	__hip_cuid_adff4279404cc81d, 1

	.ident	"AMD clang version 19.0.0git (https://github.com/RadeonOpenCompute/llvm-project roc-6.4.0 25133 c7fe45cf4b819c5991fe208aaa96edf142730f1d)"
	.section	".note.GNU-stack","",@progbits
	.addrsig
	.addrsig_sym __hip_cuid_adff4279404cc81d
	.amdgpu_metadata
---
amdhsa.kernels:
  - .args:
      - .actual_access:  read_only
        .address_space:  global
        .offset:         0
        .size:           8
        .value_kind:     global_buffer
      - .actual_access:  read_only
        .address_space:  global
        .offset:         8
        .size:           8
        .value_kind:     global_buffer
      - .actual_access:  read_only
        .address_space:  global
        .offset:         16
        .size:           8
        .value_kind:     global_buffer
      - .actual_access:  read_only
        .address_space:  global
        .offset:         24
        .size:           8
        .value_kind:     global_buffer
      - .actual_access:  read_only
        .address_space:  global
        .offset:         32
        .size:           8
        .value_kind:     global_buffer
      - .offset:         40
        .size:           8
        .value_kind:     by_value
      - .address_space:  global
        .offset:         48
        .size:           8
        .value_kind:     global_buffer
      - .address_space:  global
        .offset:         56
        .size:           8
        .value_kind:     global_buffer
      - .address_space:  global
        .offset:         64
        .size:           8
        .value_kind:     global_buffer
      - .address_space:  global
        .offset:         72
        .size:           8
        .value_kind:     global_buffer
      - .offset:         80
        .size:           4
        .value_kind:     by_value
      - .address_space:  global
        .offset:         88
        .size:           8
        .value_kind:     global_buffer
      - .address_space:  global
        .offset:         96
        .size:           8
        .value_kind:     global_buffer
    .group_segment_fixed_size: 37632
    .kernarg_segment_align: 8
    .kernarg_segment_size: 104
    .language:       OpenCL C
    .language_version:
      - 2
      - 0
    .max_flat_workgroup_size: 224
    .name:           bluestein_single_fwd_len4704_dim1_sp_op_CI_CI
    .private_segment_fixed_size: 0
    .sgpr_count:     18
    .sgpr_spill_count: 0
    .symbol:         bluestein_single_fwd_len4704_dim1_sp_op_CI_CI.kd
    .uniform_work_group_size: 1
    .uses_dynamic_stack: false
    .vgpr_count:     229
    .vgpr_spill_count: 0
    .wavefront_size: 32
    .workgroup_processor_mode: 1
amdhsa.target:   amdgcn-amd-amdhsa--gfx1030
amdhsa.version:
  - 1
  - 2
...

	.end_amdgpu_metadata
